;; amdgpu-corpus repo=ROCm/rocFFT kind=compiled arch=gfx1030 opt=O3
	.text
	.amdgcn_target "amdgcn-amd-amdhsa--gfx1030"
	.amdhsa_code_object_version 6
	.protected	bluestein_single_back_len135_dim1_dp_op_CI_CI ; -- Begin function bluestein_single_back_len135_dim1_dp_op_CI_CI
	.globl	bluestein_single_back_len135_dim1_dp_op_CI_CI
	.p2align	8
	.type	bluestein_single_back_len135_dim1_dp_op_CI_CI,@function
bluestein_single_back_len135_dim1_dp_op_CI_CI: ; @bluestein_single_back_len135_dim1_dp_op_CI_CI
; %bb.0:
	s_load_dwordx4 s[16:19], s[4:5], 0x28
	v_mul_u32_u24_e32 v1, 0x1c72, v0
	s_mov_b64 s[30:31], s[2:3]
	s_mov_b64 s[28:29], s[0:1]
	s_mov_b32 s0, exec_lo
	s_add_u32 s28, s28, s7
	v_lshrrev_b32_e32 v1, 16, v1
	s_addc_u32 s29, s29, 0
	v_mad_u64_u32 v[208:209], null, s6, 14, v[1:2]
	v_mov_b32_e32 v209, 0
	s_waitcnt lgkmcnt(0)
	v_cmpx_gt_u64_e64 s[16:17], v[208:209]
	s_cbranch_execz .LBB0_2
; %bb.1:
	s_clause 0x1
	s_load_dwordx4 s[0:3], s[4:5], 0x18
	s_load_dwordx4 s[8:11], s[4:5], 0x0
	v_mul_lo_u16 v1, v1, 9
	s_mov_b32 s16, 0x134454ff
	s_mov_b32 s17, 0x3fee6f0e
	s_mov_b32 s23, 0xbfebb67a
	s_load_dwordx2 s[4:5], s[4:5], 0x38
	v_sub_nc_u16 v140, v0, v1
	v_and_b32_e32 v7, 0xffff, v140
	v_mov_b32_e32 v29, v7
	s_waitcnt lgkmcnt(0)
	s_load_dwordx4 s[12:15], s[0:1], 0x0
	v_lshlrev_b32_e32 v28, 4, v29
	v_mov_b32_e32 v30, v29
	s_waitcnt lgkmcnt(0)
	v_mad_u64_u32 v[2:3], null, s14, v208, 0
	v_mad_u64_u32 v[4:5], null, s12, v7, 0
	s_mul_i32 s1, s13, 0x1b0
	s_mul_hi_u32 s6, s12, 0x1b0
	s_mul_i32 s0, s12, 0x1b0
	s_add_i32 s1, s6, s1
	v_mov_b32_e32 v0, v3
	s_mul_i32 s6, s13, 0xfffff9d0
	v_mov_b32_e32 v1, v5
	s_sub_i32 s6, s6, s12
	v_mad_u64_u32 v[5:6], null, s15, v208, v[0:1]
	v_mad_u64_u32 v[0:1], null, s13, v7, v[1:2]
	global_load_dwordx4 v[6:9], v28, s[8:9]
	s_mov_b32 s13, 0xbfe2cf23
	s_mov_b32 s14, 0x372fe950
	;; [unrolled: 1-line block ×3, first 2 shown]
	v_mov_b32_e32 v3, v5
	v_mov_b32_e32 v5, v0
	v_lshlrev_b64 v[2:3], 4, v[2:3]
	v_lshlrev_b64 v[4:5], 4, v[4:5]
	v_add_co_u32 v0, vcc_lo, s18, v2
	v_add_co_ci_u32_e32 v1, vcc_lo, s19, v3, vcc_lo
	s_mov_b32 s19, 0xbfee6f0e
	v_add_co_u32 v2, vcc_lo, v0, v4
	v_add_co_ci_u32_e32 v3, vcc_lo, v1, v5, vcc_lo
	v_lshrrev_b32_e32 v0, 1, v208
	v_add_co_u32 v4, vcc_lo, v2, s0
	v_add_co_ci_u32_e32 v5, vcc_lo, s1, v3, vcc_lo
	global_load_dwordx4 v[24:27], v[2:3], off
	global_load_dwordx4 v[16:19], v28, s[8:9] offset:432
	global_load_dwordx4 v[36:39], v[4:5], off
	global_load_dwordx4 v[20:23], v28, s[8:9] offset:864
	v_add_co_u32 v2, vcc_lo, v4, s0
	v_add_co_ci_u32_e32 v3, vcc_lo, s1, v5, vcc_lo
	v_mul_hi_u32 v0, 0x92492493, v0
	v_add_co_u32 v4, vcc_lo, v2, s0
	v_add_co_ci_u32_e32 v5, vcc_lo, s1, v3, vcc_lo
	global_load_dwordx4 v[44:47], v[2:3], off
	global_load_dwordx4 v[12:15], v28, s[8:9] offset:1296
	global_load_dwordx4 v[48:51], v[4:5], off
	v_add_co_u32 v56, vcc_lo, v4, s0
	v_add_co_ci_u32_e32 v57, vcc_lo, s1, v5, vcc_lo
	global_load_dwordx4 v[72:75], v28, s[8:9] offset:1728
	global_load_dwordx4 v[52:55], v[56:57], off
	s_clause 0x3
	global_load_dwordx4 v[80:83], v28, s[8:9] offset:144
	global_load_dwordx4 v[237:240], v28, s[8:9] offset:288
	;; [unrolled: 1-line block ×4, first 2 shown]
	v_lshrrev_b32_e32 v0, 2, v0
	s_mov_b32 s18, s16
	s_waitcnt vmcnt(9)
	buffer_store_dword v20, off, s[28:31], 0 offset:64 ; 4-byte Folded Spill
	buffer_store_dword v21, off, s[28:31], 0 offset:68 ; 4-byte Folded Spill
	;; [unrolled: 1-line block ×4, first 2 shown]
	v_mov_b32_e32 v61, v9
	v_mov_b32_e32 v60, v8
	;; [unrolled: 1-line block ×4, first 2 shown]
	buffer_store_dword v58, off, s[28:31], 0 offset:96 ; 4-byte Folded Spill
	buffer_store_dword v59, off, s[28:31], 0 offset:100 ; 4-byte Folded Spill
	;; [unrolled: 1-line block ×4, first 2 shown]
	v_mul_f64 v[2:3], v[26:27], v[8:9]
	v_mul_f64 v[4:5], v[24:25], v[8:9]
	;; [unrolled: 1-line block ×4, first 2 shown]
	s_waitcnt vmcnt(7)
	buffer_store_dword v12, off, s[28:31], 0 ; 4-byte Folded Spill
	buffer_store_dword v13, off, s[28:31], 0 offset:4 ; 4-byte Folded Spill
	buffer_store_dword v14, off, s[28:31], 0 offset:8 ; 4-byte Folded Spill
	;; [unrolled: 1-line block ×7, first 2 shown]
	v_mul_lo_u32 v0, v0, 14
	v_sub_nc_u32_e32 v0, v208, v0
	v_mul_u32_u24_e32 v0, 0x87, v0
	v_lshlrev_b32_e32 v141, 4, v0
	v_mul_lo_u16 v0, v140, 5
	v_and_b32_e32 v0, 0xffff, v0
	v_lshl_add_u32 v31, v0, 4, v141
	v_mul_f64 v[10:11], v[46:47], v[22:23]
	v_fma_f64 v[60:61], v[24:25], v[58:59], v[2:3]
	v_mul_f64 v[2:3], v[44:45], v[22:23]
	v_fma_f64 v[62:63], v[26:27], v[58:59], -v[4:5]
	s_waitcnt vmcnt(6)
	v_mul_f64 v[4:5], v[50:51], v[14:15]
	v_fma_f64 v[66:67], v[38:39], v[16:17], -v[8:9]
	v_fma_f64 v[64:65], v[36:37], v[16:17], v[6:7]
	v_mul_f64 v[6:7], v[48:49], v[14:15]
	v_fma_f64 v[68:69], v[44:45], v[20:21], v[10:11]
	s_waitcnt vmcnt(5)
	v_mov_b32_e32 v8, v72
	v_mov_b32_e32 v9, v73
	;; [unrolled: 1-line block ×4, first 2 shown]
	v_fma_f64 v[70:71], v[46:47], v[20:21], -v[2:3]
	global_load_dwordx4 v[44:47], v28, s[8:9] offset:1872
	buffer_store_dword v8, off, s[28:31], 0 offset:16 ; 4-byte Folded Spill
	buffer_store_dword v9, off, s[28:31], 0 offset:20 ; 4-byte Folded Spill
	;; [unrolled: 1-line block ×4, first 2 shown]
	v_fma_f64 v[72:73], v[48:49], v[12:13], v[4:5]
	v_fma_f64 v[74:75], v[50:51], v[12:13], -v[6:7]
	v_mad_u64_u32 v[6:7], null, 0xfffff9d0, s12, v[56:57]
	v_add_nc_u32_e32 v7, s6, v7
	global_load_dwordx4 v[24:27], v[6:7], off
	s_waitcnt vmcnt(6)
	v_mul_f64 v[2:3], v[54:55], v[10:11]
	v_mul_f64 v[4:5], v[52:53], v[10:11]
	v_fma_f64 v[76:77], v[52:53], v[8:9], v[2:3]
	v_fma_f64 v[78:79], v[54:55], v[8:9], -v[4:5]
	s_waitcnt vmcnt(5)
	v_mov_b32_e32 v8, v80
	v_mov_b32_e32 v9, v81
	;; [unrolled: 1-line block ×4, first 2 shown]
	buffer_store_dword v8, off, s[28:31], 0 offset:32 ; 4-byte Folded Spill
	buffer_store_dword v9, off, s[28:31], 0 offset:36 ; 4-byte Folded Spill
	;; [unrolled: 1-line block ×4, first 2 shown]
	s_waitcnt vmcnt(0)
	v_mul_f64 v[2:3], v[26:27], v[10:11]
	v_mul_f64 v[4:5], v[24:25], v[10:11]
	v_fma_f64 v[80:81], v[24:25], v[8:9], v[2:3]
	v_add_co_u32 v2, vcc_lo, v6, s0
	v_add_co_ci_u32_e32 v3, vcc_lo, s1, v7, vcc_lo
	v_fma_f64 v[82:83], v[26:27], v[8:9], -v[4:5]
	global_load_dwordx4 v[24:27], v[2:3], off
	s_clause 0x1
	global_load_dwordx4 v[52:55], v28, s[8:9] offset:576
	global_load_dwordx4 v[48:51], v28, s[8:9] offset:720
	v_add_co_u32 v2, vcc_lo, v2, s0
	v_add_co_ci_u32_e32 v3, vcc_lo, s1, v3, vcc_lo
	s_waitcnt vmcnt(1)
	v_mul_f64 v[4:5], v[26:27], v[54:55]
	v_mul_f64 v[6:7], v[24:25], v[54:55]
	v_fma_f64 v[84:85], v[24:25], v[52:53], v[4:5]
	v_fma_f64 v[86:87], v[26:27], v[52:53], -v[6:7]
	global_load_dwordx4 v[24:27], v[2:3], off
	v_add_co_u32 v2, vcc_lo, v2, s0
	v_add_co_ci_u32_e32 v3, vcc_lo, s1, v3, vcc_lo
	global_load_dwordx4 v[36:39], v[2:3], off
	s_clause 0x1
	global_load_dwordx4 v[56:59], v28, s[8:9] offset:1440
	global_load_dwordx4 v[8:11], v28, s[8:9] offset:1584
	v_add_co_u32 v2, vcc_lo, v2, s0
	v_add_co_ci_u32_e32 v3, vcc_lo, s1, v3, vcc_lo
	s_waitcnt vmcnt(0)
	buffer_store_dword v8, off, s[28:31], 0 offset:48 ; 4-byte Folded Spill
	buffer_store_dword v9, off, s[28:31], 0 offset:52 ; 4-byte Folded Spill
	;; [unrolled: 1-line block ×4, first 2 shown]
	v_mul_f64 v[4:5], v[26:27], v[42:43]
	v_mul_f64 v[6:7], v[24:25], v[42:43]
	v_fma_f64 v[88:89], v[24:25], v[40:41], v[4:5]
	v_fma_f64 v[90:91], v[26:27], v[40:41], -v[6:7]
	v_mul_f64 v[4:5], v[38:39], v[58:59]
	v_mul_f64 v[6:7], v[36:37], v[58:59]
	v_add_nc_u32_e32 v24, v28, v141
	v_fma_f64 v[92:93], v[36:37], v[56:57], v[4:5]
	v_fma_f64 v[94:95], v[38:39], v[56:57], -v[6:7]
	global_load_dwordx4 v[36:39], v[2:3], off
	v_mad_u64_u32 v[2:3], null, 0xfffff9d0, s12, v[2:3]
	v_add_nc_u32_e32 v3, s6, v3
	s_mov_b32 s6, 0x4755a5e
	s_mov_b32 s7, 0x3fe2cf23
	;; [unrolled: 1-line block ×3, first 2 shown]
	s_waitcnt vmcnt(0)
	v_mul_f64 v[4:5], v[38:39], v[46:47]
	v_mul_f64 v[6:7], v[36:37], v[46:47]
	v_fma_f64 v[96:97], v[36:37], v[44:45], v[4:5]
	v_fma_f64 v[98:99], v[38:39], v[44:45], -v[6:7]
	global_load_dwordx4 v[36:39], v[2:3], off
	v_add_co_u32 v2, vcc_lo, v2, s0
	v_add_co_ci_u32_e32 v3, vcc_lo, s1, v3, vcc_lo
	s_waitcnt vmcnt(0)
	v_mul_f64 v[4:5], v[38:39], v[239:240]
	v_mul_f64 v[6:7], v[36:37], v[239:240]
	v_fma_f64 v[100:101], v[36:37], v[237:238], v[4:5]
	v_fma_f64 v[102:103], v[38:39], v[237:238], -v[6:7]
	global_load_dwordx4 v[36:39], v[2:3], off
	v_add_co_u32 v2, vcc_lo, v2, s0
	v_add_co_ci_u32_e32 v3, vcc_lo, s1, v3, vcc_lo
	;; [unrolled: 8-line block ×4, first 2 shown]
	v_cmp_gt_u16_e32 vcc_lo, 5, v140
	s_waitcnt vmcnt(0)
	v_mul_f64 v[4:5], v[38:39], v[10:11]
	v_mul_f64 v[6:7], v[36:37], v[10:11]
	v_fma_f64 v[112:113], v[36:37], v[8:9], v[4:5]
	v_fma_f64 v[114:115], v[38:39], v[8:9], -v[6:7]
	global_load_dwordx4 v[116:119], v[2:3], off
	global_load_dwordx4 v[36:39], v28, s[8:9] offset:2016
	ds_write_b128 v24, v[60:63]
	ds_write_b128 v24, v[64:67] offset:432
	ds_write_b128 v24, v[68:71] offset:864
	;; [unrolled: 1-line block ×12, first 2 shown]
	s_load_dwordx4 s[0:3], s[2:3], 0x0
	s_waitcnt vmcnt(0)
	v_mul_f64 v[2:3], v[118:119], v[38:39]
	v_mul_f64 v[4:5], v[116:117], v[38:39]
	v_fma_f64 v[116:117], v[116:117], v[36:37], v[2:3]
	v_fma_f64 v[118:119], v[118:119], v[36:37], -v[4:5]
	ds_write_b128 v24, v[112:115] offset:1584
	ds_write_b128 v24, v[116:119] offset:2016
	s_waitcnt lgkmcnt(0)
	s_waitcnt_vscnt null, 0x0
	s_barrier
	buffer_gl0_inv
	ds_read_b128 v[60:63], v24 offset:432
	ds_read_b128 v[68:71], v24
	ds_read_b128 v[72:75], v24 offset:144
	ds_read_b128 v[76:79], v24 offset:288
	;; [unrolled: 1-line block ×6, first 2 shown]
	s_waitcnt lgkmcnt(6)
	v_add_f64 v[2:3], v[68:69], v[60:61]
	v_add_f64 v[4:5], v[70:71], v[62:63]
	s_waitcnt lgkmcnt(3)
	v_add_f64 v[10:11], v[60:61], -v[64:65]
	s_waitcnt lgkmcnt(1)
	v_add_f64 v[6:7], v[64:65], v[84:85]
	v_add_f64 v[8:9], v[66:67], -v[86:87]
	v_add_f64 v[12:13], v[64:65], -v[60:61]
	v_add_f64 v[14:15], v[66:67], v[86:87]
	v_add_f64 v[16:17], v[64:65], -v[84:85]
	v_add_f64 v[18:19], v[62:63], -v[66:67]
	;; [unrolled: 1-line block ×3, first 2 shown]
	v_add_f64 v[2:3], v[2:3], v[64:65]
	v_add_f64 v[4:5], v[4:5], v[66:67]
	ds_read_b128 v[64:67], v24 offset:1728
	ds_read_b128 v[92:95], v24 offset:1872
	s_waitcnt lgkmcnt(1)
	v_add_f64 v[22:23], v[62:63], -v[66:67]
	v_add_f64 v[2:3], v[2:3], v[84:85]
	v_add_f64 v[4:5], v[4:5], v[86:87]
	;; [unrolled: 1-line block ×3, first 2 shown]
	v_add_f64 v[112:113], v[60:61], -v[64:65]
	v_add_f64 v[104:105], v[62:63], v[66:67]
	v_add_f64 v[106:107], v[64:65], -v[84:85]
	v_add_f64 v[114:115], v[84:85], -v[64:65]
	;; [unrolled: 1-line block ×4, first 2 shown]
	v_add_f64 v[100:101], v[2:3], v[64:65]
	v_add_f64 v[102:103], v[4:5], v[66:67]
	ds_read_b128 v[60:63], v24 offset:576
	ds_read_b128 v[64:67], v24 offset:720
	;; [unrolled: 1-line block ×4, first 2 shown]
	v_add_f64 v[10:11], v[10:11], v[106:107]
	v_add_f64 v[18:19], v[18:19], v[108:109]
	s_waitcnt lgkmcnt(3)
	v_add_f64 v[2:3], v[72:73], v[60:61]
	v_add_f64 v[4:5], v[74:75], v[62:63]
	v_add_f64 v[122:123], v[60:61], -v[80:81]
	v_add_f64 v[124:125], v[80:81], -v[60:61]
	v_add_f64 v[134:135], v[60:61], v[92:93]
	v_add_f64 v[136:137], v[60:61], -v[92:93]
	v_add_f64 v[128:129], v[62:63], -v[82:83]
	;; [unrolled: 1-line block ×4, first 2 shown]
	v_add_f64 v[138:139], v[62:63], v[94:95]
	s_waitcnt lgkmcnt(1)
	v_add_f64 v[110:111], v[80:81], v[84:85]
	v_add_f64 v[120:121], v[82:83], -v[86:87]
	v_add_f64 v[118:119], v[82:83], v[86:87]
	v_add_f64 v[126:127], v[80:81], -v[84:85]
	v_add_f64 v[142:143], v[92:93], -v[84:85]
	;; [unrolled: 1-line block ×5, first 2 shown]
	s_waitcnt lgkmcnt(0)
	v_add_f64 v[150:151], v[90:91], v[98:99]
	v_add_f64 v[152:153], v[88:89], -v[96:97]
	v_add_f64 v[154:155], v[66:67], -v[90:91]
	v_add_f64 v[2:3], v[2:3], v[80:81]
	v_add_f64 v[4:5], v[4:5], v[82:83]
	ds_read_b128 v[80:83], v24 offset:2016
	s_waitcnt lgkmcnt(0)
	s_barrier
	buffer_gl0_inv
	v_add_f64 v[2:3], v[2:3], v[84:85]
	v_add_f64 v[4:5], v[4:5], v[86:87]
	v_add_f64 v[84:85], v[84:85], -v[92:93]
	v_add_f64 v[86:87], v[86:87], -v[94:95]
	;; [unrolled: 1-line block ×4, first 2 shown]
	v_add_f64 v[160:161], v[66:67], v[82:83]
	v_add_f64 v[162:163], v[80:81], -v[96:97]
	v_add_f64 v[164:165], v[82:83], -v[98:99]
	v_add_f64 v[60:61], v[2:3], v[92:93]
	v_add_f64 v[2:3], v[76:77], v[64:65]
	;; [unrolled: 1-line block ×5, first 2 shown]
	v_add_f64 v[94:95], v[90:91], -v[98:99]
	v_add_f64 v[2:3], v[2:3], v[88:89]
	v_add_f64 v[88:89], v[90:91], -v[66:67]
	v_add_f64 v[4:5], v[4:5], v[90:91]
	v_add_f64 v[90:91], v[64:65], v[80:81]
	v_fma_f64 v[92:93], v[92:93], -0.5, v[76:77]
	v_add_f64 v[2:3], v[2:3], v[96:97]
	v_add_f64 v[96:97], v[96:97], -v[80:81]
	v_add_f64 v[4:5], v[4:5], v[98:99]
	v_add_f64 v[98:99], v[98:99], -v[82:83]
	v_fma_f64 v[90:91], v[90:91], -0.5, v[76:77]
	v_add_f64 v[64:65], v[2:3], v[80:81]
	v_fma_f64 v[2:3], v[6:7], -0.5, v[68:69]
	v_fma_f64 v[6:7], v[14:15], -0.5, v[70:71]
	;; [unrolled: 1-line block ×3, first 2 shown]
	v_add_f64 v[66:67], v[4:5], v[82:83]
	v_fma_f64 v[4:5], v[25:26], -0.5, v[68:69]
	v_fma_f64 v[25:26], v[110:111], -0.5, v[72:73]
	;; [unrolled: 1-line block ×7, first 2 shown]
	v_fma_f64 v[68:69], v[22:23], s[16:17], v[2:3]
	v_fma_f64 v[70:71], v[112:113], s[18:19], v[6:7]
	;; [unrolled: 1-line block ×16, first 2 shown]
	v_add_f64 v[10:11], v[12:13], v[114:115]
	v_add_f64 v[12:13], v[20:21], v[116:117]
	v_fma_f64 v[6:7], v[112:113], s[12:13], v[6:7]
	v_fma_f64 v[2:3], v[22:23], s[6:7], v[2:3]
	;; [unrolled: 1-line block ×7, first 2 shown]
	v_add_f64 v[2:3], v[122:123], v[142:143]
	v_fma_f64 v[118:119], v[12:13], s[14:15], v[8:9]
	v_fma_f64 v[8:9], v[136:137], s[18:19], v[72:73]
	;; [unrolled: 1-line block ×3, first 2 shown]
	v_add_f64 v[4:5], v[128:129], v[144:145]
	v_add_f64 v[12:13], v[130:131], v[86:87]
	;; [unrolled: 1-line block ×3, first 2 shown]
	ds_write_b128 v31, v[100:103]
	ds_write_b128 v31, v[104:107] offset:16
	ds_write_b128 v31, v[112:115] offset:32
	;; [unrolled: 1-line block ×4, first 2 shown]
	v_fma_f64 v[6:7], v[120:121], s[6:7], v[6:7]
	v_fma_f64 v[8:9], v[126:127], s[12:13], v[8:9]
	v_mov_b32_e32 v106, v30
	v_add_co_u32 v160, null, v106, 27
	v_add_co_u32 v172, null, v106, 36
	v_mov_b32_e32 v179, v106
	v_and_b32_e32 v30, 0xff, v160
	v_and_b32_e32 v171, 0xff, v172
	v_fma_f64 v[68:69], v[2:3], s[14:15], v[6:7]
	v_fma_f64 v[6:7], v[132:133], s[18:19], v[25:26]
	;; [unrolled: 1-line block ×21, first 2 shown]
	v_add_f64 v[2:3], v[148:149], v[96:97]
	v_fma_f64 v[80:81], v[10:11], s[14:15], v[4:5]
	v_add_f64 v[4:5], v[88:89], v[98:99]
	v_add_f64 v[10:11], v[146:147], v[162:163]
	;; [unrolled: 1-line block ×3, first 2 shown]
	v_add_co_u32 v148, s20, v29, 9
	v_add_co_ci_u32_e64 v0, null, 0, 0, s20
	v_mul_u32_u24_e32 v1, 5, v148
	v_lshl_add_u32 v241, v1, 4, v141
	ds_write_b128 v241, v[60:63]
	ds_write_b128 v241, v[68:71] offset:16
	ds_write_b128 v241, v[76:79] offset:32
	;; [unrolled: 1-line block ×4, first 2 shown]
	v_fma_f64 v[6:7], v[156:157], s[6:7], v[6:7]
	v_fma_f64 v[8:9], v[158:159], s[12:13], v[8:9]
	;; [unrolled: 1-line block ×14, first 2 shown]
	v_add_co_u32 v156, null, v29, 18
	v_mul_u32_u24_e32 v1, 5, v156
	v_and_b32_e32 v19, 0xff, v156
	v_lshl_add_u32 v226, v1, 4, v141
	v_add_co_u32 v1, s20, v29, -5
	v_mul_lo_u16 v19, 0xcd, v19
	v_fma_f64 v[2:3], v[94:95], s[6:7], v[2:3]
	v_fma_f64 v[6:7], v[152:153], s[12:13], v[6:7]
	v_lshrrev_b16 v25, 10, v19
	v_fma_f64 v[4:5], v[94:95], s[12:13], v[4:5]
	v_fma_f64 v[8:9], v[152:153], s[6:7], v[8:9]
	v_mul_lo_u16 v19, v25, 5
	v_fma_f64 v[96:97], v[10:11], s[14:15], v[2:3]
	v_add_co_ci_u32_e64 v3, null, 0, -1, s20
	v_fma_f64 v[98:99], v[12:13], s[14:15], v[6:7]
	v_fma_f64 v[92:93], v[10:11], s[14:15], v[4:5]
	;; [unrolled: 1-line block ×3, first 2 shown]
	v_cndmask_b32_e32 v2, v1, v29, vcc_lo
	v_cndmask_b32_e64 v3, v3, 0, vcc_lo
	ds_write_b128 v226, v[64:67]
	ds_write_b128 v226, v[96:99] offset:16
	ds_write_b128 v226, v[84:87] offset:32
	;; [unrolled: 1-line block ×4, first 2 shown]
	v_lshlrev_b64 v[3:4], 5, v[2:3]
	s_waitcnt lgkmcnt(0)
	s_barrier
	buffer_gl0_inv
	v_and_b32_e32 v1, 0xff, v148
	v_sub_nc_u16 v29, v156, v19
	v_add_co_u32 v3, vcc_lo, s10, v3
	v_add_co_ci_u32_e32 v4, vcc_lo, s11, v4, vcc_lo
	s_clause 0x1
	global_load_dwordx4 v[76:79], v[3:4], off
	global_load_dwordx4 v[72:75], v[3:4], off offset:16
	ds_read_b128 v[60:63], v24 offset:720
	ds_read_b128 v[64:67], v24 offset:576
	v_mul_lo_u16 v1, 0xcd, v1
	v_lshlrev_b16 v19, 1, v29
	s_mov_b32 s20, 0xe8584caa
	s_mov_b32 s21, 0x3febb67a
	;; [unrolled: 1-line block ×3, first 2 shown]
	v_lshrrev_b16 v1, 10, v1
	v_and_b32_e32 v19, 0xfe, v19
	v_cmp_lt_u16_e32 vcc_lo, 4, v140
	v_mul_lo_u16 v11, v1, 5
	v_lshlrev_b32_e32 v19, 4, v19
	v_sub_nc_u16 v23, v148, v11
	v_lshlrev_b16 v11, 1, v23
	v_mad_u16 v1, v1, 15, v23
	v_mov_b32_e32 v23, 5
	v_and_b32_e32 v11, 0xfe, v11
	v_and_b32_e32 v1, 0xff, v1
	v_lshlrev_b32_e32 v11, 4, v11
	v_lshl_add_u32 v1, v1, 4, v141
	s_waitcnt vmcnt(1) lgkmcnt(1)
	v_mul_f64 v[3:4], v[62:63], v[78:79]
	v_mul_f64 v[5:6], v[60:61], v[78:79]
	v_fma_f64 v[3:4], v[60:61], v[76:77], -v[3:4]
	v_fma_f64 v[5:6], v[62:63], v[76:77], v[5:6]
	ds_read_b128 v[60:63], v24 offset:1440
	ds_read_b128 v[68:71], v24 offset:1584
	s_clause 0x1
	global_load_dwordx4 v[84:87], v11, s[10:11]
	global_load_dwordx4 v[80:83], v11, s[10:11] offset:16
	s_waitcnt vmcnt(2) lgkmcnt(1)
	v_mul_f64 v[7:8], v[62:63], v[74:75]
	v_mul_f64 v[9:10], v[60:61], v[74:75]
	v_fma_f64 v[7:8], v[60:61], v[72:73], -v[7:8]
	v_fma_f64 v[9:10], v[62:63], v[72:73], v[9:10]
	ds_read_b128 v[60:63], v24 offset:864
	ds_read_b128 v[96:99], v24 offset:1008
	s_clause 0x1
	global_load_dwordx4 v[92:95], v19, s[10:11]
	global_load_dwordx4 v[88:91], v19, s[10:11] offset:16
	s_waitcnt vmcnt(3) lgkmcnt(1)
	v_mul_f64 v[11:12], v[62:63], v[86:87]
	v_mul_f64 v[13:14], v[60:61], v[86:87]
	s_waitcnt vmcnt(2)
	v_mul_f64 v[15:16], v[70:71], v[82:83]
	v_mul_f64 v[17:18], v[68:69], v[82:83]
	v_fma_f64 v[11:12], v[60:61], v[84:85], -v[11:12]
	v_fma_f64 v[13:14], v[62:63], v[84:85], v[13:14]
	v_fma_f64 v[15:16], v[68:69], v[80:81], -v[15:16]
	v_fma_f64 v[17:18], v[70:71], v[80:81], v[17:18]
	ds_read_b128 v[60:63], v24 offset:1728
	ds_read_b128 v[68:71], v24 offset:1872
	s_waitcnt vmcnt(1) lgkmcnt(2)
	v_mul_f64 v[19:20], v[98:99], v[94:95]
	v_mul_f64 v[21:22], v[96:97], v[94:95]
	s_waitcnt vmcnt(0) lgkmcnt(1)
	v_mul_f64 v[26:27], v[62:63], v[90:91]
	v_fma_f64 v[19:20], v[96:97], v[92:93], -v[19:20]
	v_fma_f64 v[21:22], v[98:99], v[92:93], v[21:22]
	v_fma_f64 v[26:27], v[60:61], v[88:89], -v[26:27]
	v_mul_f64 v[60:61], v[60:61], v[90:91]
	v_fma_f64 v[136:137], v[62:63], v[88:89], v[60:61]
	v_mul_lo_u16 v60, 0xcd, v30
	v_lshrrev_b16 v155, 10, v60
	v_mul_lo_u16 v60, v155, 5
	v_sub_nc_u16 v159, v160, v60
	v_lshlrev_b16 v60, 1, v159
	v_and_b32_e32 v60, 0xfe, v60
	v_lshlrev_b32_e32 v60, 4, v60
	s_clause 0x1
	global_load_dwordx4 v[100:103], v60, s[10:11]
	global_load_dwordx4 v[96:99], v60, s[10:11] offset:16
	ds_read_b128 v[60:63], v24 offset:1152
	ds_read_b128 v[112:115], v24 offset:1296
	s_waitcnt vmcnt(1) lgkmcnt(1)
	v_mul_f64 v[104:105], v[62:63], v[102:103]
	v_fma_f64 v[146:147], v[60:61], v[100:101], -v[104:105]
	v_mul_f64 v[60:61], v[60:61], v[102:103]
	v_fma_f64 v[149:150], v[62:63], v[100:101], v[60:61]
	s_waitcnt vmcnt(0)
	v_mul_f64 v[60:61], v[70:71], v[98:99]
	v_fma_f64 v[151:152], v[68:69], v[96:97], -v[60:61]
	v_mul_f64 v[60:61], v[68:69], v[98:99]
	v_fma_f64 v[153:154], v[70:71], v[96:97], v[60:61]
	v_mul_lo_u16 v60, 0xcd, v171
	v_lshrrev_b16 v177, 10, v60
	v_mul_lo_u16 v60, v177, 5
	v_sub_nc_u16 v178, v172, v60
	v_lshlrev_b16 v60, 1, v178
	v_and_b32_e32 v60, 0xfe, v60
	v_lshlrev_b32_e32 v60, 4, v60
	s_clause 0x1
	global_load_dwordx4 v[108:111], v60, s[10:11]
	global_load_dwordx4 v[104:107], v60, s[10:11] offset:16
	s_waitcnt vmcnt(1) lgkmcnt(0)
	v_mul_f64 v[60:61], v[114:115], v[110:111]
	v_fma_f64 v[157:158], v[112:113], v[108:109], -v[60:61]
	v_mul_f64 v[60:61], v[112:113], v[110:111]
	v_add_f64 v[112:113], v[3:4], v[7:8]
	v_fma_f64 v[165:166], v[114:115], v[108:109], v[60:61]
	ds_read_b128 v[60:63], v24 offset:2016
	s_waitcnt vmcnt(0) lgkmcnt(0)
	v_mul_f64 v[68:69], v[62:63], v[106:107]
	v_fma_f64 v[167:168], v[60:61], v[104:105], -v[68:69]
	v_mul_f64 v[60:61], v[60:61], v[106:107]
	v_fma_f64 v[169:170], v[62:63], v[104:105], v[60:61]
	ds_read_b128 v[60:63], v24
	ds_read_b128 v[68:71], v24 offset:144
	ds_read_b128 v[128:131], v24 offset:288
	;; [unrolled: 1-line block ×3, first 2 shown]
	s_waitcnt lgkmcnt(3)
	v_fma_f64 v[114:115], v[112:113], -0.5, v[60:61]
	v_add_f64 v[112:113], v[5:6], v[9:10]
	v_add_f64 v[60:61], v[60:61], v[3:4]
	v_add_f64 v[3:4], v[3:4], -v[7:8]
	v_fma_f64 v[118:119], v[112:113], -0.5, v[62:63]
	v_add_f64 v[62:63], v[62:63], v[5:6]
	v_add_f64 v[5:6], v[5:6], -v[9:10]
	v_add_f64 v[60:61], v[60:61], v[7:8]
	s_waitcnt lgkmcnt(2)
	v_add_f64 v[7:8], v[70:71], v[13:14]
	v_add_f64 v[62:63], v[62:63], v[9:10]
	v_fma_f64 v[112:113], v[5:6], s[20:21], v[114:115]
	v_fma_f64 v[116:117], v[5:6], s[22:23], v[114:115]
	;; [unrolled: 1-line block ×4, first 2 shown]
	v_add_f64 v[3:4], v[11:12], v[15:16]
	v_add_f64 v[5:6], v[13:14], v[17:18]
	v_add_f64 v[13:14], v[13:14], -v[17:18]
	v_add_f64 v[9:10], v[68:69], v[11:12]
	v_fma_f64 v[3:4], v[3:4], -0.5, v[68:69]
	v_fma_f64 v[5:6], v[5:6], -0.5, v[70:71]
	v_add_f64 v[70:71], v[7:8], v[17:18]
	v_add_f64 v[7:8], v[11:12], -v[15:16]
	v_add_f64 v[11:12], v[21:22], -v[136:137]
	v_add_f64 v[68:69], v[9:10], v[15:16]
	s_waitcnt lgkmcnt(1)
	v_add_f64 v[9:10], v[128:129], v[19:20]
	v_fma_f64 v[120:121], v[13:14], s[20:21], v[3:4]
	v_fma_f64 v[124:125], v[13:14], s[22:23], v[3:4]
	v_add_f64 v[3:4], v[19:20], v[26:27]
	v_fma_f64 v[122:123], v[7:8], s[22:23], v[5:6]
	v_fma_f64 v[126:127], v[7:8], s[20:21], v[5:6]
	v_add_f64 v[5:6], v[21:22], v[136:137]
	v_add_f64 v[7:8], v[130:131], v[21:22]
	v_fma_f64 v[3:4], v[3:4], -0.5, v[128:129]
	v_add_f64 v[128:129], v[9:10], v[26:27]
	s_waitcnt lgkmcnt(0)
	v_add_f64 v[9:10], v[132:133], v[146:147]
	v_fma_f64 v[5:6], v[5:6], -0.5, v[130:131]
	v_add_f64 v[130:131], v[7:8], v[136:137]
	v_add_f64 v[7:8], v[19:20], -v[26:27]
	v_fma_f64 v[136:137], v[11:12], s[20:21], v[3:4]
	v_fma_f64 v[142:143], v[11:12], s[22:23], v[3:4]
	v_add_f64 v[3:4], v[146:147], v[151:152]
	v_add_f64 v[11:12], v[149:150], -v[153:154]
	v_fma_f64 v[138:139], v[7:8], s[22:23], v[5:6]
	v_fma_f64 v[144:145], v[7:8], s[20:21], v[5:6]
	v_add_f64 v[5:6], v[149:150], v[153:154]
	v_add_f64 v[7:8], v[134:135], v[149:150]
	v_fma_f64 v[3:4], v[3:4], -0.5, v[132:133]
	v_add_f64 v[132:133], v[9:10], v[151:152]
	v_add_f64 v[9:10], v[64:65], v[157:158]
	v_fma_f64 v[5:6], v[5:6], -0.5, v[134:135]
	v_add_f64 v[134:135], v[7:8], v[153:154]
	v_add_f64 v[7:8], v[146:147], -v[151:152]
	v_fma_f64 v[149:150], v[11:12], s[20:21], v[3:4]
	v_fma_f64 v[161:162], v[11:12], s[22:23], v[3:4]
	v_add_f64 v[3:4], v[157:158], v[167:168]
	v_add_f64 v[11:12], v[165:166], -v[169:170]
	v_fma_f64 v[151:152], v[7:8], s[22:23], v[5:6]
	v_fma_f64 v[163:164], v[7:8], s[20:21], v[5:6]
	v_add_f64 v[5:6], v[165:166], v[169:170]
	v_add_f64 v[7:8], v[66:67], v[165:166]
	v_fma_f64 v[3:4], v[3:4], -0.5, v[64:65]
	v_add_f64 v[64:65], v[9:10], v[167:168]
	v_fma_f64 v[5:6], v[5:6], -0.5, v[66:67]
	v_add_f64 v[66:67], v[7:8], v[169:170]
	v_add_f64 v[7:8], v[157:158], -v[167:168]
	v_fma_f64 v[165:166], v[11:12], s[20:21], v[3:4]
	v_fma_f64 v[173:174], v[11:12], s[22:23], v[3:4]
	v_cndmask_b32_e64 v3, 0, 15, vcc_lo
	v_cmp_gt_u16_e32 vcc_lo, 6, v140
	v_add_nc_u32_e32 v2, v2, v3
	v_fma_f64 v[167:168], v[7:8], s[22:23], v[5:6]
	v_fma_f64 v[175:176], v[7:8], s[20:21], v[5:6]
	v_lshl_add_u32 v2, v2, 4, v141
	buffer_store_dword v2, off, s[28:31], 0 offset:132 ; 4-byte Folded Spill
	s_waitcnt_vscnt null, 0x0
	s_barrier
	buffer_gl0_inv
	ds_write_b128 v2, v[60:63]
	ds_write_b128 v2, v[112:115] offset:80
	ds_write_b128 v2, v[116:119] offset:160
	buffer_store_dword v1, off, s[28:31], 0 offset:128 ; 4-byte Folded Spill
	ds_write_b128 v1, v[68:71]
	ds_write_b128 v1, v[120:123] offset:80
	ds_write_b128 v1, v[124:127] offset:160
	v_mad_u16 v1, v25, 15, v29
	v_and_b32_e32 v1, 0xff, v1
	v_lshl_add_u32 v1, v1, 4, v141
	buffer_store_dword v1, off, s[28:31], 0 offset:124 ; 4-byte Folded Spill
	ds_write_b128 v1, v[128:131]
	ds_write_b128 v1, v[136:139] offset:80
	ds_write_b128 v1, v[142:145] offset:160
	v_mad_u16 v1, v155, 15, v159
	v_lshlrev_b32_e32 v142, 5, v179
	v_and_b32_e32 v1, 0xff, v1
	v_lshl_add_u32 v1, v1, 4, v141
	buffer_store_dword v1, off, s[28:31], 0 offset:120 ; 4-byte Folded Spill
	ds_write_b128 v1, v[132:135]
	ds_write_b128 v1, v[149:152] offset:80
	ds_write_b128 v1, v[161:164] offset:160
	v_mad_u16 v1, v177, 15, v178
	v_and_b32_e32 v1, 0xff, v1
	v_lshl_add_u32 v1, v1, 4, v141
	buffer_store_dword v1, off, s[28:31], 0 offset:116 ; 4-byte Folded Spill
	ds_write_b128 v1, v[64:67]
	ds_write_b128 v1, v[165:168] offset:80
	ds_write_b128 v1, v[173:176] offset:160
	s_waitcnt lgkmcnt(0)
	s_waitcnt_vscnt null, 0x0
	s_barrier
	buffer_gl0_inv
	buffer_store_dword v179, off, s[28:31], 0 offset:112 ; 4-byte Folded Spill
	s_clause 0x1
	global_load_dwordx4 v[64:67], v142, s[10:11] offset:160
	global_load_dwordx4 v[60:63], v142, s[10:11] offset:176
	ds_read_b128 v[68:71], v24 offset:720
	ds_read_b128 v[149:152], v24 offset:576
	v_add_co_u32 v1, s24, v179, -6
	v_add_co_ci_u32_e64 v10, null, 0, -1, s24
	v_cndmask_b32_e32 v11, v10, v0, vcc_lo
	v_cndmask_b32_e32 v10, v1, v148, vcc_lo
	v_mul_lo_u16 v0, 0x89, v30
	v_lshlrev_b64 v[11:12], 5, v[10:11]
	v_lshrrev_b16 v0, 11, v0
	v_add_co_u32 v11, vcc_lo, s10, v11
	v_add_co_ci_u32_e32 v12, vcc_lo, s11, v12, vcc_lo
	v_mul_lo_u16 v1, v0, 15
	v_cmp_lt_u16_e32 vcc_lo, 5, v140
	v_sub_nc_u16 v1, v160, v1
	v_lshlrev_b32_sdwa v23, v23, v1 dst_sel:DWORD dst_unused:UNUSED_PAD src0_sel:DWORD src1_sel:BYTE_0
	s_waitcnt vmcnt(1) lgkmcnt(1)
	v_mul_f64 v[2:3], v[70:71], v[66:67]
	v_mul_f64 v[4:5], v[68:69], v[66:67]
	v_fma_f64 v[2:3], v[68:69], v[64:65], -v[2:3]
	v_fma_f64 v[4:5], v[70:71], v[64:65], v[4:5]
	ds_read_b128 v[68:71], v24 offset:1440
	ds_read_b128 v[116:119], v24 offset:1584
	s_clause 0x1
	global_load_dwordx4 v[120:123], v[11:12], off offset:160
	global_load_dwordx4 v[112:115], v[11:12], off offset:176
	s_waitcnt vmcnt(2) lgkmcnt(1)
	v_mul_f64 v[6:7], v[70:71], v[62:63]
	v_mul_f64 v[8:9], v[68:69], v[62:63]
	v_fma_f64 v[6:7], v[68:69], v[60:61], -v[6:7]
	v_fma_f64 v[8:9], v[70:71], v[60:61], v[8:9]
	ds_read_b128 v[68:71], v24 offset:864
	ds_read_b128 v[128:131], v24 offset:1008
	v_add_f64 v[165:166], v[2:3], v[6:7]
	s_waitcnt vmcnt(1) lgkmcnt(1)
	v_mul_f64 v[11:12], v[70:71], v[122:123]
	s_waitcnt vmcnt(0)
	v_mul_f64 v[15:16], v[118:119], v[114:115]
	v_mul_f64 v[17:18], v[116:117], v[114:115]
	;; [unrolled: 1-line block ×3, first 2 shown]
	v_fma_f64 v[11:12], v[68:69], v[120:121], -v[11:12]
	v_fma_f64 v[15:16], v[116:117], v[112:113], -v[15:16]
	v_fma_f64 v[17:18], v[118:119], v[112:113], v[17:18]
	s_clause 0x1
	global_load_dwordx4 v[124:127], v142, s[10:11] offset:256
	global_load_dwordx4 v[116:119], v142, s[10:11] offset:272
	v_fma_f64 v[13:14], v[70:71], v[120:121], v[13:14]
	ds_read_b128 v[68:71], v24 offset:1728
	ds_read_b128 v[136:139], v24 offset:1872
	s_waitcnt vmcnt(1) lgkmcnt(2)
	v_mul_f64 v[19:20], v[130:131], v[126:127]
	v_mul_f64 v[21:22], v[128:129], v[126:127]
	v_fma_f64 v[19:20], v[128:129], v[124:125], -v[19:20]
	s_waitcnt vmcnt(0) lgkmcnt(1)
	v_mul_f64 v[128:129], v[70:71], v[118:119]
	v_fma_f64 v[21:22], v[130:131], v[124:125], v[21:22]
	v_fma_f64 v[153:154], v[68:69], v[116:117], -v[128:129]
	s_clause 0x1
	global_load_dwordx4 v[132:135], v23, s[10:11] offset:160
	global_load_dwordx4 v[128:131], v23, s[10:11] offset:176
	v_mul_f64 v[68:69], v[68:69], v[118:119]
	v_mul_lo_u16 v23, 0x89, v171
	v_lshrrev_b16 v23, 11, v23
	v_mul_lo_u16 v23, v23, 15
	v_sub_nc_u16 v23, v172, v23
	v_and_b32_e32 v23, 0xff, v23
	v_fma_f64 v[157:158], v[70:71], v[116:117], v[68:69]
	ds_read_b128 v[68:71], v24 offset:1152
	ds_read_b128 v[161:164], v24 offset:1296
	v_lshlrev_b32_e32 v25, 5, v23
	v_lshl_add_u32 v255, v23, 4, v141
	s_waitcnt vmcnt(1) lgkmcnt(1)
	v_mul_f64 v[143:144], v[70:71], v[134:135]
	v_fma_f64 v[169:170], v[68:69], v[132:133], -v[143:144]
	v_mul_f64 v[68:69], v[68:69], v[134:135]
	v_fma_f64 v[201:202], v[70:71], v[132:133], v[68:69]
	s_waitcnt vmcnt(0)
	v_mul_f64 v[68:69], v[138:139], v[130:131]
	v_fma_f64 v[203:204], v[136:137], v[128:129], -v[68:69]
	v_mul_f64 v[68:69], v[136:137], v[130:131]
	v_fma_f64 v[205:206], v[138:139], v[128:129], v[68:69]
	s_clause 0x1
	global_load_dwordx4 v[144:147], v25, s[10:11] offset:160
	global_load_dwordx4 v[136:139], v25, s[10:11] offset:176
	s_waitcnt vmcnt(1) lgkmcnt(0)
	v_mul_f64 v[68:69], v[163:164], v[146:147]
	v_fma_f64 v[209:210], v[161:162], v[144:145], -v[68:69]
	v_mul_f64 v[68:69], v[161:162], v[146:147]
	v_fma_f64 v[211:212], v[163:164], v[144:145], v[68:69]
	ds_read_b128 v[68:71], v24 offset:2016
	s_waitcnt vmcnt(0) lgkmcnt(0)
	v_mul_f64 v[161:162], v[70:71], v[138:139]
	v_fma_f64 v[217:218], v[68:69], v[136:137], -v[161:162]
	v_mul_f64 v[68:69], v[68:69], v[138:139]
	v_fma_f64 v[219:220], v[70:71], v[136:137], v[68:69]
	ds_read_b128 v[68:71], v24
	ds_read_b128 v[161:164], v24 offset:144
	ds_read_b128 v[185:188], v24 offset:288
	;; [unrolled: 1-line block ×3, first 2 shown]
	s_waitcnt lgkmcnt(0)
	s_waitcnt_vscnt null, 0x0
	s_barrier
	buffer_gl0_inv
	v_fma_f64 v[167:168], v[165:166], -0.5, v[68:69]
	v_add_f64 v[165:166], v[4:5], v[8:9]
	v_add_f64 v[68:69], v[68:69], v[2:3]
	v_add_f64 v[2:3], v[2:3], -v[6:7]
	v_fma_f64 v[175:176], v[165:166], -0.5, v[70:71]
	v_add_f64 v[70:71], v[70:71], v[4:5]
	v_add_f64 v[4:5], v[4:5], -v[8:9]
	v_add_f64 v[68:69], v[68:69], v[6:7]
	v_add_f64 v[6:7], v[163:164], v[13:14]
	;; [unrolled: 1-line block ×3, first 2 shown]
	v_fma_f64 v[165:166], v[4:5], s[20:21], v[167:168]
	v_fma_f64 v[173:174], v[4:5], s[22:23], v[167:168]
	;; [unrolled: 1-line block ×4, first 2 shown]
	v_add_f64 v[2:3], v[11:12], v[15:16]
	v_add_f64 v[4:5], v[13:14], v[17:18]
	v_add_f64 v[13:14], v[13:14], -v[17:18]
	v_add_f64 v[8:9], v[161:162], v[11:12]
	ds_write_b128 v24, v[68:71]
	ds_write_b128 v24, v[165:168] offset:240
	ds_write_b128 v24, v[173:176] offset:480
	v_fma_f64 v[2:3], v[2:3], -0.5, v[161:162]
	v_fma_f64 v[4:5], v[4:5], -0.5, v[163:164]
	v_add_f64 v[163:164], v[6:7], v[17:18]
	v_add_f64 v[6:7], v[11:12], -v[15:16]
	v_add_f64 v[11:12], v[21:22], -v[157:158]
	v_add_f64 v[161:162], v[8:9], v[15:16]
	v_add_f64 v[8:9], v[185:186], v[19:20]
	v_fma_f64 v[177:178], v[13:14], s[20:21], v[2:3]
	v_fma_f64 v[181:182], v[13:14], s[22:23], v[2:3]
	v_add_f64 v[2:3], v[19:20], v[153:154]
	v_fma_f64 v[179:180], v[6:7], s[22:23], v[4:5]
	v_fma_f64 v[183:184], v[6:7], s[20:21], v[4:5]
	v_add_f64 v[4:5], v[21:22], v[157:158]
	v_add_f64 v[6:7], v[187:188], v[21:22]
	v_fma_f64 v[2:3], v[2:3], -0.5, v[185:186]
	v_add_f64 v[185:186], v[8:9], v[153:154]
	v_add_f64 v[8:9], v[189:190], v[169:170]
	v_fma_f64 v[4:5], v[4:5], -0.5, v[187:188]
	v_add_f64 v[187:188], v[6:7], v[157:158]
	v_add_f64 v[6:7], v[19:20], -v[153:154]
	v_fma_f64 v[193:194], v[11:12], s[20:21], v[2:3]
	v_fma_f64 v[197:198], v[11:12], s[22:23], v[2:3]
	v_add_f64 v[2:3], v[169:170], v[203:204]
	v_add_f64 v[11:12], v[201:202], -v[205:206]
	v_fma_f64 v[195:196], v[6:7], s[22:23], v[4:5]
	v_fma_f64 v[199:200], v[6:7], s[20:21], v[4:5]
	v_add_f64 v[4:5], v[201:202], v[205:206]
	v_add_f64 v[6:7], v[191:192], v[201:202]
	v_fma_f64 v[2:3], v[2:3], -0.5, v[189:190]
	v_add_f64 v[189:190], v[8:9], v[203:204]
	v_add_f64 v[8:9], v[149:150], v[209:210]
	v_fma_f64 v[4:5], v[4:5], -0.5, v[191:192]
	v_add_f64 v[191:192], v[6:7], v[205:206]
	v_add_f64 v[6:7], v[169:170], -v[203:204]
	v_fma_f64 v[201:202], v[11:12], s[20:21], v[2:3]
	v_fma_f64 v[213:214], v[11:12], s[22:23], v[2:3]
	v_add_f64 v[2:3], v[209:210], v[217:218]
	v_add_f64 v[11:12], v[211:212], -v[219:220]
	v_fma_f64 v[203:204], v[6:7], s[22:23], v[4:5]
	v_fma_f64 v[215:216], v[6:7], s[20:21], v[4:5]
	v_add_f64 v[4:5], v[211:212], v[219:220]
	v_add_f64 v[6:7], v[151:152], v[211:212]
	v_fma_f64 v[2:3], v[2:3], -0.5, v[149:150]
	v_add_f64 v[149:150], v[8:9], v[217:218]
	v_fma_f64 v[4:5], v[4:5], -0.5, v[151:152]
	v_add_f64 v[151:152], v[6:7], v[219:220]
	v_add_f64 v[6:7], v[209:210], -v[217:218]
	v_fma_f64 v[229:230], v[11:12], s[20:21], v[2:3]
	v_fma_f64 v[233:234], v[11:12], s[22:23], v[2:3]
	v_cndmask_b32_e64 v2, 0, 45, vcc_lo
	v_add_nc_u32_e32 v2, v10, v2
	v_fma_f64 v[231:232], v[6:7], s[22:23], v[4:5]
	v_fma_f64 v[235:236], v[6:7], s[20:21], v[4:5]
	v_lshl_add_u32 v221, v2, 4, v141
	v_mov_b32_e32 v2, 45
	ds_write_b128 v221, v[161:164]
	ds_write_b128 v221, v[177:180] offset:240
	ds_write_b128 v221, v[181:184] offset:480
	;; [unrolled: 1-line block ×5, first 2 shown]
	v_mul_u32_u24_sdwa v0, v0, v2 dst_sel:DWORD dst_unused:UNUSED_PAD src0_sel:WORD_0 src1_sel:DWORD
	v_add_nc_u32_sdwa v0, v0, v1 dst_sel:DWORD dst_unused:UNUSED_PAD src0_sel:DWORD src1_sel:BYTE_0
	v_lshl_add_u32 v242, v0, 4, v141
	ds_write_b128 v242, v[189:192]
	ds_write_b128 v242, v[201:204] offset:240
	ds_write_b128 v242, v[213:216] offset:480
	;; [unrolled: 1-line block ×5, first 2 shown]
	s_waitcnt lgkmcnt(0)
	s_barrier
	buffer_gl0_inv
	s_clause 0x1
	global_load_dwordx4 v[68:71], v142, s[10:11] offset:640
	global_load_dwordx4 v[140:143], v142, s[10:11] offset:656
	ds_read_b128 v[149:152], v24 offset:720
	ds_read_b128 v[180:183], v24 offset:576
	v_lshlrev_b32_e32 v0, 5, v148
	s_waitcnt vmcnt(1) lgkmcnt(1)
	v_mul_f64 v[2:3], v[151:152], v[70:71]
	v_mul_f64 v[4:5], v[149:150], v[70:71]
	v_fma_f64 v[2:3], v[149:150], v[68:69], -v[2:3]
	v_fma_f64 v[4:5], v[151:152], v[68:69], v[4:5]
	ds_read_b128 v[149:152], v24 offset:1440
	ds_read_b128 v[161:164], v24 offset:1584
	s_waitcnt vmcnt(0) lgkmcnt(1)
	v_mul_f64 v[6:7], v[151:152], v[142:143]
	v_mul_f64 v[8:9], v[149:150], v[142:143]
	v_fma_f64 v[6:7], v[149:150], v[140:141], -v[6:7]
	v_fma_f64 v[8:9], v[151:152], v[140:141], v[8:9]
	s_clause 0x1
	global_load_dwordx4 v[152:155], v0, s[10:11] offset:640
	global_load_dwordx4 v[148:151], v0, s[10:11] offset:656
	ds_read_b128 v[165:168], v24 offset:864
	ds_read_b128 v[173:176], v24 offset:1008
	v_lshlrev_b32_e32 v0, 5, v156
	v_add_f64 v[192:193], v[2:3], v[6:7]
	s_waitcnt vmcnt(1) lgkmcnt(1)
	v_mul_f64 v[10:11], v[167:168], v[154:155]
	v_mul_f64 v[12:13], v[165:166], v[154:155]
	s_waitcnt vmcnt(0)
	v_mul_f64 v[16:17], v[161:162], v[150:151]
	v_mul_f64 v[14:15], v[163:164], v[150:151]
	v_fma_f64 v[10:11], v[165:166], v[152:153], -v[10:11]
	v_fma_f64 v[12:13], v[167:168], v[152:153], v[12:13]
	v_fma_f64 v[16:17], v[163:164], v[148:149], v[16:17]
	s_clause 0x1
	global_load_dwordx4 v[164:167], v0, s[10:11] offset:640
	global_load_dwordx4 v[156:159], v0, s[10:11] offset:656
	v_fma_f64 v[14:15], v[161:162], v[148:149], -v[14:15]
	v_lshlrev_b32_e32 v0, 5, v160
	s_waitcnt vmcnt(1) lgkmcnt(0)
	v_mul_f64 v[18:19], v[175:176], v[166:167]
	v_mul_f64 v[20:21], v[173:174], v[166:167]
	v_fma_f64 v[18:19], v[173:174], v[164:165], -v[18:19]
	v_fma_f64 v[20:21], v[175:176], v[164:165], v[20:21]
	ds_read_b128 v[168:171], v24 offset:1728
	ds_read_b128 v[173:176], v24 offset:1872
	s_waitcnt vmcnt(0) lgkmcnt(1)
	v_mul_f64 v[22:23], v[170:171], v[158:159]
	v_mul_f64 v[161:162], v[168:169], v[158:159]
	v_fma_f64 v[22:23], v[168:169], v[156:157], -v[22:23]
	v_fma_f64 v[209:210], v[170:171], v[156:157], v[161:162]
	s_clause 0x1
	global_load_dwordx4 v[168:171], v0, s[10:11] offset:640
	global_load_dwordx4 v[160:163], v0, s[10:11] offset:656
	ds_read_b128 v[184:187], v24 offset:1152
	ds_read_b128 v[188:191], v24 offset:1296
	v_lshlrev_b32_e32 v0, 5, v172
	s_waitcnt vmcnt(1) lgkmcnt(1)
	v_mul_f64 v[177:178], v[186:187], v[170:171]
	v_fma_f64 v[211:212], v[184:185], v[168:169], -v[177:178]
	v_mul_f64 v[177:178], v[184:185], v[170:171]
	v_fma_f64 v[217:218], v[186:187], v[168:169], v[177:178]
	s_waitcnt vmcnt(0)
	v_mul_f64 v[177:178], v[175:176], v[162:163]
	v_fma_f64 v[219:220], v[173:174], v[160:161], -v[177:178]
	v_mul_f64 v[173:174], v[173:174], v[162:163]
	v_fma_f64 v[222:223], v[175:176], v[160:161], v[173:174]
	s_clause 0x1
	global_load_dwordx4 v[176:179], v0, s[10:11] offset:640
	global_load_dwordx4 v[172:175], v0, s[10:11] offset:656
	s_waitcnt vmcnt(1) lgkmcnt(0)
	v_mul_f64 v[184:185], v[190:191], v[178:179]
	v_fma_f64 v[224:225], v[188:189], v[176:177], -v[184:185]
	v_mul_f64 v[184:185], v[188:189], v[178:179]
	v_fma_f64 v[0:1], v[190:191], v[176:177], v[184:185]
	ds_read_b128 v[184:187], v24 offset:2016
	s_waitcnt vmcnt(0) lgkmcnt(0)
	v_mul_f64 v[29:30], v[186:187], v[174:175]
	v_fma_f64 v[29:30], v[184:185], v[172:173], -v[29:30]
	v_mul_f64 v[184:185], v[184:185], v[174:175]
	v_fma_f64 v[227:228], v[186:187], v[172:173], v[184:185]
	ds_read_b128 v[184:187], v24
	ds_read_b128 v[188:191], v24 offset:144
	ds_read_b128 v[213:216], v24 offset:288
	ds_read_b128 v[229:232], v24 offset:432
	s_waitcnt lgkmcnt(3)
	v_fma_f64 v[194:195], v[192:193], -0.5, v[184:185]
	v_add_f64 v[192:193], v[4:5], v[8:9]
	v_add_f64 v[184:185], v[184:185], v[2:3]
	v_add_f64 v[2:3], v[2:3], -v[6:7]
	v_fma_f64 v[198:199], v[192:193], -0.5, v[186:187]
	v_add_f64 v[186:187], v[186:187], v[4:5]
	v_add_f64 v[4:5], v[4:5], -v[8:9]
	v_add_f64 v[184:185], v[184:185], v[6:7]
	s_waitcnt lgkmcnt(2)
	v_add_f64 v[6:7], v[190:191], v[12:13]
	v_add_f64 v[186:187], v[186:187], v[8:9]
	v_fma_f64 v[192:193], v[4:5], s[20:21], v[194:195]
	v_fma_f64 v[196:197], v[4:5], s[22:23], v[194:195]
	v_add_f64 v[4:5], v[12:13], v[16:17]
	v_fma_f64 v[194:195], v[2:3], s[22:23], v[198:199]
	v_fma_f64 v[198:199], v[2:3], s[20:21], v[198:199]
	v_add_f64 v[2:3], v[10:11], v[14:15]
	v_add_f64 v[12:13], v[12:13], -v[16:17]
	v_add_f64 v[8:9], v[188:189], v[10:11]
	v_fma_f64 v[4:5], v[4:5], -0.5, v[190:191]
	v_add_f64 v[190:191], v[6:7], v[16:17]
	v_add_f64 v[6:7], v[10:11], -v[14:15]
	v_fma_f64 v[2:3], v[2:3], -0.5, v[188:189]
	v_add_f64 v[10:11], v[20:21], -v[209:210]
	v_add_f64 v[188:189], v[8:9], v[14:15]
	s_waitcnt lgkmcnt(1)
	v_add_f64 v[8:9], v[213:214], v[18:19]
	v_fma_f64 v[202:203], v[6:7], s[22:23], v[4:5]
	v_fma_f64 v[206:207], v[6:7], s[20:21], v[4:5]
	v_add_f64 v[4:5], v[20:21], v[209:210]
	v_add_f64 v[6:7], v[215:216], v[20:21]
	v_fma_f64 v[200:201], v[12:13], s[20:21], v[2:3]
	v_fma_f64 v[204:205], v[12:13], s[22:23], v[2:3]
	v_add_f64 v[2:3], v[18:19], v[22:23]
	v_fma_f64 v[4:5], v[4:5], -0.5, v[215:216]
	v_add_f64 v[215:216], v[6:7], v[209:210]
	v_add_f64 v[6:7], v[18:19], -v[22:23]
	v_fma_f64 v[2:3], v[2:3], -0.5, v[213:214]
	v_add_f64 v[213:214], v[8:9], v[22:23]
	s_waitcnt lgkmcnt(0)
	v_add_f64 v[8:9], v[229:230], v[211:212]
	v_fma_f64 v[235:236], v[6:7], s[22:23], v[4:5]
	v_fma_f64 v[245:246], v[6:7], s[20:21], v[4:5]
	v_add_f64 v[4:5], v[217:218], v[222:223]
	v_add_f64 v[6:7], v[231:232], v[217:218]
	v_fma_f64 v[233:234], v[10:11], s[20:21], v[2:3]
	v_fma_f64 v[243:244], v[10:11], s[22:23], v[2:3]
	v_add_f64 v[2:3], v[211:212], v[219:220]
	v_add_f64 v[10:11], v[217:218], -v[222:223]
	v_fma_f64 v[4:5], v[4:5], -0.5, v[231:232]
	v_add_f64 v[231:232], v[6:7], v[222:223]
	v_add_f64 v[6:7], v[211:212], -v[219:220]
	v_fma_f64 v[2:3], v[2:3], -0.5, v[229:230]
	v_add_f64 v[229:230], v[8:9], v[219:220]
	v_add_f64 v[8:9], v[180:181], v[224:225]
	v_fma_f64 v[249:250], v[6:7], s[22:23], v[4:5]
	v_fma_f64 v[253:254], v[6:7], s[20:21], v[4:5]
	v_add_f64 v[4:5], v[0:1], v[227:228]
	v_add_f64 v[6:7], v[182:183], v[0:1]
	v_fma_f64 v[247:248], v[10:11], s[20:21], v[2:3]
	v_fma_f64 v[251:252], v[10:11], s[22:23], v[2:3]
	v_add_f64 v[2:3], v[224:225], v[29:30]
	v_add_f64 v[0:1], v[0:1], -v[227:228]
	v_fma_f64 v[4:5], v[4:5], -0.5, v[182:183]
	v_add_f64 v[182:183], v[6:7], v[227:228]
	v_add_f64 v[6:7], v[224:225], -v[29:30]
	v_fma_f64 v[2:3], v[2:3], -0.5, v[180:181]
	v_add_f64 v[180:181], v[8:9], v[29:30]
	v_fma_f64 v[224:225], v[6:7], s[22:23], v[4:5]
	v_fma_f64 v[219:220], v[6:7], s[20:21], v[4:5]
	v_add_co_u32 v4, s8, s8, v28
	v_add_co_ci_u32_e64 v5, null, s9, 0, s8
	v_fma_f64 v[222:223], v[0:1], s[20:21], v[2:3]
	v_fma_f64 v[217:218], v[0:1], s[22:23], v[2:3]
	v_add_co_u32 v0, vcc_lo, 0x800, v4
	v_add_co_ci_u32_e32 v1, vcc_lo, 0, v5, vcc_lo
	ds_write_b128 v24, v[184:187]
	ds_write_b128 v24, v[188:191] offset:144
	ds_write_b128 v24, v[213:216] offset:288
	;; [unrolled: 1-line block ×14, first 2 shown]
	s_waitcnt lgkmcnt(0)
	s_barrier
	buffer_gl0_inv
	global_load_dwordx4 v[180:183], v[0:1], off offset:112
	v_add_co_u32 v12, vcc_lo, 0x870, v4
	v_add_co_ci_u32_e32 v13, vcc_lo, 0, v5, vcc_lo
	ds_read_b128 v[184:187], v24
	ds_read_b128 v[188:191], v24 offset:144
	ds_read_b128 v[196:199], v24 offset:432
	;; [unrolled: 1-line block ×3, first 2 shown]
	s_clause 0x2
	global_load_dwordx4 v[192:195], v[12:13], off offset:432
	global_load_dwordx4 v[200:203], v[12:13], off offset:576
	;; [unrolled: 1-line block ×3, first 2 shown]
	ds_read_b128 v[217:220], v24 offset:864
	ds_read_b128 v[222:225], v24 offset:1008
	s_clause 0x1
	global_load_dwordx4 v[229:232], v[12:13], off offset:720
	global_load_dwordx4 v[233:236], v[12:13], off offset:1296
	ds_read_b128 v[243:246], v24 offset:1296
	ds_read_b128 v[251:254], v24 offset:1152
	global_load_dwordx4 v[247:250], v[12:13], off offset:1440
	s_waitcnt vmcnt(6) lgkmcnt(7)
	v_mul_f64 v[0:1], v[186:187], v[182:183]
	v_mul_f64 v[2:3], v[184:185], v[182:183]
	v_fma_f64 v[182:183], v[184:185], v[180:181], -v[0:1]
	v_fma_f64 v[184:185], v[186:187], v[180:181], v[2:3]
	s_waitcnt vmcnt(5) lgkmcnt(5)
	v_mul_f64 v[0:1], v[198:199], v[194:195]
	v_mul_f64 v[2:3], v[196:197], v[194:195]
	v_fma_f64 v[194:195], v[196:197], v[192:193], -v[0:1]
	v_fma_f64 v[196:197], v[198:199], v[192:193], v[2:3]
	;; [unrolled: 5-line block ×4, first 2 shown]
	global_load_dwordx4 v[233:236], v[12:13], off offset:1728
	ds_read_b128 v[0:3], v24 offset:1728
	ds_read_b128 v[209:212], v24 offset:1872
	global_load_dwordx4 v[16:19], v[12:13], off offset:1584
	s_waitcnt vmcnt(1) lgkmcnt(1)
	v_mul_f64 v[4:5], v[2:3], v[235:236]
	v_mul_f64 v[6:7], v[0:1], v[235:236]
	v_fma_f64 v[20:21], v[0:1], v[233:234], -v[4:5]
	v_fma_f64 v[22:23], v[2:3], v[233:234], v[6:7]
	s_clause 0x1
	global_load_dwordx4 v[233:236], v[12:13], off offset:144
	global_load_dwordx4 v[8:11], v[12:13], off offset:288
	s_waitcnt vmcnt(1)
	v_mul_f64 v[0:1], v[190:191], v[235:236]
	v_mul_f64 v[2:3], v[188:189], v[235:236]
	v_fma_f64 v[186:187], v[188:189], v[233:234], -v[0:1]
	v_fma_f64 v[188:189], v[190:191], v[233:234], v[2:3]
	ds_read_b128 v[190:193], v24 offset:576
	ds_read_b128 v[233:236], v24 offset:720
	s_waitcnt lgkmcnt(1)
	v_mul_f64 v[0:1], v[192:193], v[202:203]
	v_mul_f64 v[2:3], v[190:191], v[202:203]
	v_fma_f64 v[190:191], v[190:191], v[200:201], -v[0:1]
	v_fma_f64 v[192:193], v[192:193], v[200:201], v[2:3]
	s_clause 0x1
	global_load_dwordx4 v[198:201], v[12:13], off offset:1008
	global_load_dwordx4 v[4:7], v[12:13], off offset:1152
	s_waitcnt vmcnt(1)
	v_mul_f64 v[0:1], v[224:225], v[200:201]
	v_mul_f64 v[2:3], v[222:223], v[200:201]
	v_fma_f64 v[200:201], v[222:223], v[198:199], -v[0:1]
	v_fma_f64 v[202:203], v[224:225], v[198:199], v[2:3]
	ds_read_b128 v[222:225], v24 offset:1440
	ds_read_b128 v[0:3], v24 offset:1584
	s_waitcnt lgkmcnt(1)
	v_mul_f64 v[14:15], v[224:225], v[249:250]
	v_mul_f64 v[28:29], v[222:223], v[249:250]
	v_fma_f64 v[222:223], v[222:223], v[247:248], -v[14:15]
	v_fma_f64 v[224:225], v[224:225], v[247:248], v[28:29]
	s_clause 0x1
	global_load_dwordx4 v[247:250], v[12:13], off offset:1872
	global_load_dwordx4 v[12:15], v[12:13], off offset:2016
	s_waitcnt vmcnt(1)
	v_mul_f64 v[28:29], v[211:212], v[249:250]
	v_mul_f64 v[180:181], v[209:210], v[249:250]
	v_fma_f64 v[209:210], v[209:210], v[247:248], -v[28:29]
	v_mul_f64 v[28:29], v[206:207], v[10:11]
	v_mul_f64 v[10:11], v[204:205], v[10:11]
	v_fma_f64 v[211:212], v[211:212], v[247:248], v[180:181]
	v_fma_f64 v[204:205], v[204:205], v[8:9], -v[28:29]
	v_fma_f64 v[206:207], v[206:207], v[8:9], v[10:11]
	v_mul_f64 v[8:9], v[235:236], v[231:232]
	v_mul_f64 v[10:11], v[233:234], v[231:232]
	;; [unrolled: 1-line block ×4, first 2 shown]
	v_fma_f64 v[8:9], v[233:234], v[229:230], -v[8:9]
	v_fma_f64 v[10:11], v[235:236], v[229:230], v[10:11]
	v_fma_f64 v[229:230], v[251:252], v[4:5], -v[28:29]
	v_fma_f64 v[231:232], v[253:254], v[4:5], v[6:7]
	s_waitcnt lgkmcnt(0)
	v_mul_f64 v[4:5], v[2:3], v[18:19]
	v_mul_f64 v[6:7], v[0:1], v[18:19]
	v_fma_f64 v[0:1], v[0:1], v[16:17], -v[4:5]
	v_fma_f64 v[2:3], v[2:3], v[16:17], v[6:7]
	ds_read_b128 v[4:7], v24 offset:2016
	s_waitcnt vmcnt(0) lgkmcnt(0)
	v_mul_f64 v[16:17], v[6:7], v[14:15]
	v_mul_f64 v[14:15], v[4:5], v[14:15]
	v_fma_f64 v[4:5], v[4:5], v[12:13], -v[16:17]
	v_fma_f64 v[6:7], v[6:7], v[12:13], v[14:15]
	ds_write_b128 v24, v[182:185]
	ds_write_b128 v24, v[194:197] offset:432
	ds_write_b128 v24, v[215:218] offset:864
	;; [unrolled: 1-line block ×14, first 2 shown]
	s_waitcnt lgkmcnt(0)
	s_barrier
	buffer_gl0_inv
	ds_read_b128 v[0:3], v24 offset:432
	ds_read_b128 v[4:7], v24
	ds_read_b128 v[180:183], v24 offset:144
	ds_read_b128 v[184:187], v24 offset:288
	;; [unrolled: 1-line block ×4, first 2 shown]
	s_waitcnt lgkmcnt(4)
	v_add_f64 v[16:17], v[4:5], v[0:1]
	s_waitcnt lgkmcnt(1)
	v_add_f64 v[206:207], v[0:1], -v[8:9]
	v_add_f64 v[202:203], v[8:9], -v[0:1]
	;; [unrolled: 1-line block ×4, first 2 shown]
	v_add_f64 v[28:29], v[16:17], v[8:9]
	v_add_f64 v[16:17], v[6:7], v[2:3]
	;; [unrolled: 1-line block ×3, first 2 shown]
	ds_read_b128 v[16:19], v24 offset:1296
	ds_read_b128 v[20:23], v24 offset:1152
	s_waitcnt lgkmcnt(1)
	v_add_f64 v[200:201], v[8:9], v[16:17]
	v_add_f64 v[204:205], v[10:11], -v[18:19]
	v_add_f64 v[211:212], v[10:11], v[18:19]
	v_add_f64 v[219:220], v[8:9], -v[16:17]
	ds_read_b128 v[8:11], v24 offset:1728
	ds_read_b128 v[188:191], v24 offset:1872
	s_waitcnt lgkmcnt(1)
	v_add_f64 v[253:254], v[2:3], -v[10:11]
	v_add_f64 v[249:250], v[0:1], v[8:9]
	v_add_f64 v[247:248], v[0:1], -v[8:9]
	v_add_f64 v[235:236], v[2:3], v[10:11]
	v_add_f64 v[0:1], v[28:29], v[16:17]
	;; [unrolled: 1-line block ×3, first 2 shown]
	v_add_f64 v[29:30], v[8:9], -v[16:17]
	v_add_f64 v[233:234], v[16:17], -v[8:9]
	;; [unrolled: 1-line block ×4, first 2 shown]
	v_add_f64 v[0:1], v[0:1], v[8:9]
	v_add_f64 v[2:3], v[2:3], v[10:11]
	ds_read_b128 v[8:11], v24 offset:576
	ds_read_b128 v[16:19], v24 offset:720
	v_add_f64 v[27:28], v[227:228], v[27:28]
	v_add_f64 v[25:26], v[251:252], v[25:26]
	s_waitcnt lgkmcnt(1)
	v_add_f64 v[192:193], v[180:181], v[8:9]
	v_add_f64 v[217:218], v[8:9], -v[12:13]
	v_add_f64 v[231:232], v[8:9], -v[188:189]
	;; [unrolled: 1-line block ×3, first 2 shown]
	v_add_f64 v[209:210], v[192:193], v[12:13]
	v_add_f64 v[192:193], v[182:183], v[10:11]
	;; [unrolled: 1-line block ×3, first 2 shown]
	ds_read_b128 v[192:195], v24 offset:1440
	ds_read_b128 v[196:199], v24 offset:1584
	s_waitcnt lgkmcnt(1)
	v_add_f64 v[215:216], v[12:13], v[192:193]
	buffer_store_dword v215, off, s[28:31], 0 offset:208 ; 4-byte Folded Spill
	buffer_store_dword v216, off, s[28:31], 0 offset:212 ; 4-byte Folded Spill
	;; [unrolled: 1-line block ×4, first 2 shown]
	v_add_f64 v[217:218], v[12:13], -v[8:9]
	buffer_store_dword v217, off, s[28:31], 0 offset:216 ; 4-byte Folded Spill
	buffer_store_dword v218, off, s[28:31], 0 offset:220 ; 4-byte Folded Spill
	v_add_f64 v[217:218], v[14:15], v[194:195]
	buffer_store_dword v217, off, s[28:31], 0 offset:224 ; 4-byte Folded Spill
	buffer_store_dword v218, off, s[28:31], 0 offset:228 ; 4-byte Folded Spill
	v_add_f64 v[217:218], v[12:13], -v[192:193]
	v_add_f64 v[12:13], v[10:11], -v[14:15]
	buffer_store_dword v12, off, s[28:31], 0 offset:160 ; 4-byte Folded Spill
	buffer_store_dword v13, off, s[28:31], 0 offset:164 ; 4-byte Folded Spill
	v_add_f64 v[12:13], v[14:15], -v[10:11]
	buffer_store_dword v12, off, s[28:31], 0 offset:232 ; 4-byte Folded Spill
	buffer_store_dword v13, off, s[28:31], 0 offset:236 ; 4-byte Folded Spill
	v_add_f64 v[12:13], v[8:9], v[188:189]
	v_add_f64 v[8:9], v[10:11], v[190:191]
	buffer_store_dword v12, off, s[28:31], 0 offset:264 ; 4-byte Folded Spill
	buffer_store_dword v13, off, s[28:31], 0 offset:268 ; 4-byte Folded Spill
	;; [unrolled: 1-line block ×4, first 2 shown]
	v_add_f64 v[12:13], v[188:189], -v[192:193]
	v_add_f64 v[8:9], v[209:210], v[192:193]
	buffer_store_dword v12, off, s[28:31], 0 offset:184 ; 4-byte Folded Spill
	buffer_store_dword v13, off, s[28:31], 0 offset:188 ; 4-byte Folded Spill
	v_add_f64 v[12:13], v[192:193], -v[188:189]
	v_add_f64 v[188:189], v[8:9], v[188:189]
	v_add_f64 v[8:9], v[184:185], v[16:17]
	v_add_f64 v[215:216], v[14:15], -v[194:195]
	v_add_f64 v[14:15], v[190:191], -v[194:195]
	buffer_store_dword v14, off, s[28:31], 0 offset:192 ; 4-byte Folded Spill
	buffer_store_dword v15, off, s[28:31], 0 offset:196 ; 4-byte Folded Spill
	v_add_f64 v[192:193], v[8:9], v[20:21]
	v_add_f64 v[8:9], v[186:187], v[18:19]
	;; [unrolled: 1-line block ×3, first 2 shown]
	v_add_f64 v[14:15], v[194:195], -v[190:191]
	s_waitcnt lgkmcnt(0)
	v_add_f64 v[209:210], v[22:23], -v[198:199]
	v_add_f64 v[213:214], v[20:21], -v[196:197]
	v_add_f64 v[192:193], v[192:193], v[196:197]
	v_add_f64 v[194:195], v[8:9], v[22:23]
	;; [unrolled: 1-line block ×3, first 2 shown]
	buffer_store_dword v8, off, s[28:31], 0 offset:168 ; 4-byte Folded Spill
	buffer_store_dword v9, off, s[28:31], 0 offset:172 ; 4-byte Folded Spill
	v_add_f64 v[8:9], v[16:17], -v[20:21]
	buffer_store_dword v8, off, s[28:31], 0 offset:136 ; 4-byte Folded Spill
	buffer_store_dword v9, off, s[28:31], 0 offset:140 ; 4-byte Folded Spill
	v_add_f64 v[8:9], v[20:21], -v[16:17]
	buffer_store_dword v8, off, s[28:31], 0 offset:176 ; 4-byte Folded Spill
	buffer_store_dword v9, off, s[28:31], 0 offset:180 ; 4-byte Folded Spill
	v_add_f64 v[8:9], v[22:23], v[198:199]
	buffer_store_dword v8, off, s[28:31], 0 offset:200 ; 4-byte Folded Spill
	buffer_store_dword v9, off, s[28:31], 0 offset:204 ; 4-byte Folded Spill
	v_add_f64 v[8:9], v[18:19], -v[22:23]
	buffer_store_dword v8, off, s[28:31], 0 offset:144 ; 4-byte Folded Spill
	buffer_store_dword v9, off, s[28:31], 0 offset:148 ; 4-byte Folded Spill
	v_add_f64 v[190:191], v[10:11], v[190:191]
	ds_read_b128 v[8:11], v24 offset:2016
	v_add_f64 v[20:21], v[22:23], -v[18:19]
	v_add_f64 v[194:195], v[194:195], v[198:199]
	s_waitcnt lgkmcnt(0)
	v_add_f64 v[243:244], v[18:19], -v[10:11]
	v_add_f64 v[22:23], v[16:17], v[8:9]
	v_add_f64 v[245:246], v[16:17], -v[8:9]
	v_add_f64 v[16:17], v[18:19], v[10:11]
	v_add_f64 v[18:19], v[8:9], -v[196:197]
	buffer_store_dword v18, off, s[28:31], 0 offset:240 ; 4-byte Folded Spill
	buffer_store_dword v19, off, s[28:31], 0 offset:244 ; 4-byte Folded Spill
	v_add_f64 v[18:19], v[196:197], -v[8:9]
	v_add_f64 v[196:197], v[10:11], -v[198:199]
	;; [unrolled: 1-line block ×3, first 2 shown]
	v_add_f64 v[192:193], v[192:193], v[8:9]
	v_add_f64 v[194:195], v[194:195], v[10:11]
	v_fma_f64 v[8:9], v[249:250], -0.5, v[4:5]
	v_fma_f64 v[10:11], v[211:212], -0.5, v[6:7]
	;; [unrolled: 1-line block ×3, first 2 shown]
	buffer_store_dword v196, off, s[28:31], 0 offset:248 ; 4-byte Folded Spill
	buffer_store_dword v197, off, s[28:31], 0 offset:252 ; 4-byte Folded Spill
	v_fma_f64 v[4:5], v[200:201], -0.5, v[4:5]
	v_add_f64 v[200:201], v[202:203], v[233:234]
	s_waitcnt_vscnt null, 0x0
	v_fma_f64 v[196:197], v[204:205], s[16:17], v[8:9]
	v_fma_f64 v[8:9], v[204:205], s[18:19], v[8:9]
	;; [unrolled: 1-line block ×4, first 2 shown]
	s_barrier
	buffer_gl0_inv
	v_fma_f64 v[196:197], v[253:254], s[12:13], v[196:197]
	v_fma_f64 v[8:9], v[253:254], s[6:7], v[8:9]
	;; [unrolled: 1-line block ×12, first 2 shown]
	v_add_f64 v[25:26], v[206:207], v[29:30]
	v_fma_f64 v[8:9], v[219:220], s[6:7], v[8:9]
	v_fma_f64 v[6:7], v[204:205], s[12:13], v[6:7]
	v_fma_f64 v[29:30], v[204:205], s[6:7], v[4:5]
	v_fma_f64 v[10:11], v[219:220], s[12:13], v[10:11]
	v_fma_f64 v[4:5], v[25:26], s[14:15], v[6:7]
	v_fma_f64 v[6:7], v[27:28], s[14:15], v[8:9]
	v_fma_f64 v[204:205], v[25:26], s[14:15], v[29:30]
	v_fma_f64 v[206:207], v[27:28], s[14:15], v[10:11]
	ds_write_b128 v31, v[0:3]
	ds_write_b128 v31, v[4:7] offset:16
	ds_write_b128 v31, v[196:199] offset:32
	;; [unrolled: 1-line block ×4, first 2 shown]
	s_clause 0x1
	buffer_load_dword v0, off, s[28:31], 0 offset:264
	buffer_load_dword v1, off, s[28:31], 0 offset:268
	s_waitcnt vmcnt(0)
	v_fma_f64 v[4:5], v[0:1], -0.5, v[180:181]
	s_clause 0x1
	buffer_load_dword v0, off, s[28:31], 0 offset:208
	buffer_load_dword v1, off, s[28:31], 0 offset:212
	s_waitcnt vmcnt(0)
	v_fma_f64 v[8:9], v[0:1], -0.5, v[180:181]
	;; [unrolled: 5-line block ×4, first 2 shown]
	s_clause 0x1
	buffer_load_dword v0, off, s[28:31], 0 offset:216
	buffer_load_dword v1, off, s[28:31], 0 offset:220
	v_fma_f64 v[2:3], v[217:218], s[18:19], v[6:7]
	v_fma_f64 v[6:7], v[217:218], s[16:17], v[6:7]
	;; [unrolled: 1-line block ×4, first 2 shown]
	s_waitcnt vmcnt(0)
	v_add_f64 v[12:13], v[0:1], v[12:13]
	s_clause 0x5
	buffer_load_dword v0, off, s[28:31], 0 offset:232
	buffer_load_dword v1, off, s[28:31], 0 offset:236
	;; [unrolled: 1-line block ×6, first 2 shown]
	s_waitcnt vmcnt(4)
	v_add_f64 v[14:15], v[0:1], v[14:15]
	s_waitcnt vmcnt(0)
	v_add_f64 v[25:26], v[25:26], v[27:28]
	s_clause 0x3
	buffer_load_dword v27, off, s[28:31], 0 offset:160
	buffer_load_dword v28, off, s[28:31], 0 offset:164
	;; [unrolled: 1-line block ×4, first 2 shown]
	v_fma_f64 v[0:1], v[215:216], s[16:17], v[4:5]
	v_fma_f64 v[4:5], v[215:216], s[18:19], v[4:5]
	v_fma_f64 v[2:3], v[14:15], s[14:15], v[2:3]
	v_fma_f64 v[6:7], v[14:15], s[14:15], v[6:7]
	v_fma_f64 v[14:15], v[231:232], s[16:17], v[10:11]
	v_fma_f64 v[0:1], v[229:230], s[12:13], v[0:1]
	v_fma_f64 v[4:5], v[229:230], s[6:7], v[4:5]
	v_fma_f64 v[10:11], v[231:232], s[18:19], v[10:11]
	v_fma_f64 v[14:15], v[217:218], s[6:7], v[14:15]
	v_fma_f64 v[0:1], v[12:13], s[14:15], v[0:1]
	v_fma_f64 v[4:5], v[12:13], s[14:15], v[4:5]
	v_fma_f64 v[12:13], v[229:230], s[18:19], v[8:9]
	v_fma_f64 v[8:9], v[229:230], s[16:17], v[8:9]
	v_fma_f64 v[180:181], v[217:218], s[12:13], v[10:11]
	v_fma_f64 v[12:13], v[215:216], s[12:13], v[12:13]
	s_waitcnt vmcnt(0)
	v_add_f64 v[27:28], v[27:28], v[29:30]
	v_fma_f64 v[29:30], v[215:216], s[6:7], v[8:9]
	v_fma_f64 v[8:9], v[25:26], s[14:15], v[12:13]
	;; [unrolled: 1-line block ×5, first 2 shown]
	ds_write_b128 v241, v[188:191]
	ds_write_b128 v241, v[8:11] offset:16
	ds_write_b128 v241, v[0:3] offset:32
	;; [unrolled: 1-line block ×4, first 2 shown]
	s_clause 0x1
	buffer_load_dword v0, off, s[28:31], 0 offset:168
	buffer_load_dword v1, off, s[28:31], 0 offset:172
	v_fma_f64 v[6:7], v[16:17], -0.5, v[186:187]
	v_add_f64 v[14:15], v[20:21], v[223:224]
	v_fma_f64 v[4:5], v[22:23], -0.5, v[184:185]
	v_fma_f64 v[2:3], v[213:214], s[18:19], v[6:7]
	v_fma_f64 v[6:7], v[213:214], s[16:17], v[6:7]
	;; [unrolled: 1-line block ×6, first 2 shown]
	s_waitcnt vmcnt(0)
	v_fma_f64 v[8:9], v[0:1], -0.5, v[184:185]
	s_clause 0x1
	buffer_load_dword v0, off, s[28:31], 0 offset:200
	buffer_load_dword v1, off, s[28:31], 0 offset:204
	s_waitcnt vmcnt(0)
	v_fma_f64 v[10:11], v[0:1], -0.5, v[186:187]
	s_clause 0x1
	buffer_load_dword v0, off, s[28:31], 0 offset:176
	buffer_load_dword v1, off, s[28:31], 0 offset:180
	v_fma_f64 v[14:15], v[245:246], s[16:17], v[10:11]
	v_fma_f64 v[10:11], v[245:246], s[18:19], v[10:11]
	;; [unrolled: 1-line block ×4, first 2 shown]
	s_waitcnt vmcnt(0)
	v_add_f64 v[12:13], v[0:1], v[18:19]
	s_clause 0x3
	buffer_load_dword v16, off, s[28:31], 0 offset:136
	buffer_load_dword v17, off, s[28:31], 0 offset:140
	;; [unrolled: 1-line block ×4, first 2 shown]
	v_fma_f64 v[0:1], v[209:210], s[16:17], v[4:5]
	v_fma_f64 v[4:5], v[209:210], s[18:19], v[4:5]
	;; [unrolled: 1-line block ×9, first 2 shown]
	s_waitcnt vmcnt(0)
	v_add_f64 v[16:17], v[16:17], v[18:19]
	s_clause 0x3
	buffer_load_dword v18, off, s[28:31], 0 offset:144
	buffer_load_dword v19, off, s[28:31], 0 offset:148
	;; [unrolled: 1-line block ×4, first 2 shown]
	s_waitcnt vmcnt(0)
	v_add_f64 v[18:19], v[18:19], v[20:21]
	v_fma_f64 v[20:21], v[209:210], s[6:7], v[8:9]
	v_fma_f64 v[8:9], v[16:17], s[14:15], v[12:13]
	;; [unrolled: 1-line block ×5, first 2 shown]
	ds_write_b128 v226, v[192:195]
	ds_write_b128 v226, v[8:11] offset:16
	ds_write_b128 v226, v[0:3] offset:32
	;; [unrolled: 1-line block ×4, first 2 shown]
	s_waitcnt lgkmcnt(0)
	s_barrier
	buffer_gl0_inv
	ds_read_b128 v[0:3], v24 offset:720
	ds_read_b128 v[4:7], v24 offset:576
	s_waitcnt lgkmcnt(1)
	v_mul_f64 v[8:9], v[78:79], v[2:3]
	v_fma_f64 v[16:17], v[76:77], v[0:1], v[8:9]
	v_mul_f64 v[0:1], v[78:79], v[0:1]
	v_fma_f64 v[18:19], v[76:77], v[2:3], -v[0:1]
	ds_read_b128 v[0:3], v24 offset:1440
	ds_read_b128 v[8:11], v24 offset:1584
	s_waitcnt lgkmcnt(1)
	v_mul_f64 v[12:13], v[74:75], v[2:3]
	v_fma_f64 v[20:21], v[72:73], v[0:1], v[12:13]
	v_mul_f64 v[0:1], v[74:75], v[0:1]
	v_fma_f64 v[22:23], v[72:73], v[2:3], -v[0:1]
	;; [unrolled: 7-line block ×3, first 2 shown]
	v_mul_f64 v[0:1], v[82:83], v[10:11]
	v_fma_f64 v[29:30], v[80:81], v[8:9], v[0:1]
	v_mul_f64 v[0:1], v[82:83], v[8:9]
	v_fma_f64 v[76:77], v[80:81], v[10:11], -v[0:1]
	s_waitcnt lgkmcnt(0)
	v_mul_f64 v[0:1], v[94:95], v[14:15]
	v_fma_f64 v[78:79], v[92:93], v[12:13], v[0:1]
	v_mul_f64 v[0:1], v[94:95], v[12:13]
	v_fma_f64 v[80:81], v[92:93], v[14:15], -v[0:1]
	ds_read_b128 v[0:3], v24 offset:1728
	ds_read_b128 v[8:11], v24 offset:1872
	s_waitcnt lgkmcnt(1)
	v_mul_f64 v[12:13], v[90:91], v[2:3]
	v_fma_f64 v[82:83], v[88:89], v[0:1], v[12:13]
	v_mul_f64 v[0:1], v[90:91], v[0:1]
	v_fma_f64 v[84:85], v[88:89], v[2:3], -v[0:1]
	ds_read_b128 v[0:3], v24 offset:1152
	ds_read_b128 v[12:15], v24 offset:1296
	s_waitcnt lgkmcnt(1)
	v_mul_f64 v[72:73], v[102:103], v[2:3]
	v_fma_f64 v[86:87], v[100:101], v[0:1], v[72:73]
	v_mul_f64 v[0:1], v[102:103], v[0:1]
	v_fma_f64 v[88:89], v[100:101], v[2:3], -v[0:1]
	v_mul_f64 v[0:1], v[98:99], v[10:11]
	v_fma_f64 v[90:91], v[96:97], v[8:9], v[0:1]
	v_mul_f64 v[0:1], v[98:99], v[8:9]
	v_fma_f64 v[92:93], v[96:97], v[10:11], -v[0:1]
	s_waitcnt lgkmcnt(0)
	v_mul_f64 v[0:1], v[110:111], v[14:15]
	v_fma_f64 v[94:95], v[108:109], v[12:13], v[0:1]
	v_mul_f64 v[0:1], v[110:111], v[12:13]
	v_add_f64 v[12:13], v[16:17], v[20:21]
	v_fma_f64 v[96:97], v[108:109], v[14:15], -v[0:1]
	ds_read_b128 v[0:3], v24 offset:2016
	s_waitcnt lgkmcnt(0)
	v_mul_f64 v[8:9], v[106:107], v[2:3]
	v_fma_f64 v[98:99], v[104:105], v[0:1], v[8:9]
	v_mul_f64 v[0:1], v[106:107], v[0:1]
	v_fma_f64 v[100:101], v[104:105], v[2:3], -v[0:1]
	ds_read_b128 v[0:3], v24
	ds_read_b128 v[8:11], v24 offset:144
	s_waitcnt lgkmcnt(1)
	v_fma_f64 v[14:15], v[12:13], -0.5, v[0:1]
	v_add_f64 v[12:13], v[18:19], v[22:23]
	v_add_f64 v[0:1], v[0:1], v[16:17]
	v_fma_f64 v[72:73], v[12:13], -0.5, v[2:3]
	v_add_f64 v[2:3], v[2:3], v[18:19]
	v_add_f64 v[18:19], v[18:19], -v[22:23]
	v_add_f64 v[0:1], v[0:1], v[20:21]
	v_add_f64 v[20:21], v[16:17], -v[20:21]
	v_add_f64 v[2:3], v[2:3], v[22:23]
	v_fma_f64 v[12:13], v[18:19], s[22:23], v[14:15]
	v_fma_f64 v[16:17], v[18:19], s[20:21], v[14:15]
	;; [unrolled: 1-line block ×4, first 2 shown]
	ds_read_b128 v[20:23], v24 offset:288
	ds_read_b128 v[72:75], v24 offset:432
	s_waitcnt lgkmcnt(0)
	s_barrier
	buffer_gl0_inv
	buffer_load_dword v31, off, s[28:31], 0 offset:132 ; 4-byte Folded Reload
	s_waitcnt vmcnt(0)
	ds_write_b128 v31, v[0:3]
	ds_write_b128 v31, v[12:15] offset:80
	ds_write_b128 v31, v[16:19] offset:160
	v_add_f64 v[0:1], v[25:26], v[29:30]
	v_add_f64 v[16:17], v[25:26], -v[29:30]
	v_fma_f64 v[12:13], v[0:1], -0.5, v[8:9]
	v_add_f64 v[0:1], v[27:28], v[76:77]
	v_add_f64 v[8:9], v[8:9], v[25:26]
	v_fma_f64 v[14:15], v[0:1], -0.5, v[10:11]
	v_add_f64 v[0:1], v[10:11], v[27:28]
	v_add_f64 v[10:11], v[27:28], -v[76:77]
	v_add_f64 v[2:3], v[0:1], v[76:77]
	v_add_f64 v[0:1], v[8:9], v[29:30]
	v_fma_f64 v[8:9], v[10:11], s[22:23], v[12:13]
	v_fma_f64 v[12:13], v[10:11], s[20:21], v[12:13]
	;; [unrolled: 1-line block ×4, first 2 shown]
	buffer_load_dword v16, off, s[28:31], 0 offset:128 ; 4-byte Folded Reload
	s_waitcnt vmcnt(0)
	ds_write_b128 v16, v[0:3]
	ds_write_b128 v16, v[8:11] offset:80
	ds_write_b128 v16, v[12:15] offset:160
	v_add_f64 v[0:1], v[78:79], v[82:83]
	v_add_f64 v[8:9], v[20:21], v[78:79]
	v_add_f64 v[12:13], v[80:81], -v[84:85]
	v_add_f64 v[16:17], v[78:79], -v[82:83]
	v_fma_f64 v[10:11], v[0:1], -0.5, v[20:21]
	v_add_f64 v[0:1], v[80:81], v[84:85]
	v_fma_f64 v[14:15], v[0:1], -0.5, v[22:23]
	v_add_f64 v[0:1], v[22:23], v[80:81]
	v_add_f64 v[2:3], v[0:1], v[84:85]
	;; [unrolled: 1-line block ×3, first 2 shown]
	v_fma_f64 v[8:9], v[12:13], s[22:23], v[10:11]
	v_fma_f64 v[12:13], v[12:13], s[20:21], v[10:11]
	;; [unrolled: 1-line block ×4, first 2 shown]
	buffer_load_dword v16, off, s[28:31], 0 offset:124 ; 4-byte Folded Reload
	s_waitcnt vmcnt(0)
	ds_write_b128 v16, v[0:3]
	ds_write_b128 v16, v[8:11] offset:80
	ds_write_b128 v16, v[12:15] offset:160
	v_add_f64 v[0:1], v[86:87], v[90:91]
	v_add_f64 v[8:9], v[72:73], v[86:87]
	v_add_f64 v[12:13], v[88:89], -v[92:93]
	v_add_f64 v[16:17], v[86:87], -v[90:91]
	v_fma_f64 v[10:11], v[0:1], -0.5, v[72:73]
	v_add_f64 v[0:1], v[88:89], v[92:93]
	v_fma_f64 v[14:15], v[0:1], -0.5, v[74:75]
	v_add_f64 v[0:1], v[74:75], v[88:89]
	v_add_f64 v[2:3], v[0:1], v[92:93]
	;; [unrolled: 1-line block ×3, first 2 shown]
	v_fma_f64 v[8:9], v[12:13], s[22:23], v[10:11]
	v_fma_f64 v[12:13], v[12:13], s[20:21], v[10:11]
	;; [unrolled: 1-line block ×4, first 2 shown]
	buffer_load_dword v16, off, s[28:31], 0 offset:120 ; 4-byte Folded Reload
	s_waitcnt vmcnt(0)
	ds_write_b128 v16, v[0:3]
	ds_write_b128 v16, v[8:11] offset:80
	ds_write_b128 v16, v[12:15] offset:160
	v_add_f64 v[0:1], v[94:95], v[98:99]
	v_add_f64 v[12:13], v[94:95], -v[98:99]
	v_fma_f64 v[8:9], v[0:1], -0.5, v[4:5]
	v_add_f64 v[0:1], v[96:97], v[100:101]
	v_add_f64 v[4:5], v[4:5], v[94:95]
	v_fma_f64 v[10:11], v[0:1], -0.5, v[6:7]
	v_add_f64 v[0:1], v[6:7], v[96:97]
	v_add_f64 v[6:7], v[96:97], -v[100:101]
	v_add_f64 v[2:3], v[0:1], v[100:101]
	v_add_f64 v[0:1], v[4:5], v[98:99]
	v_fma_f64 v[4:5], v[6:7], s[22:23], v[8:9]
	v_fma_f64 v[8:9], v[6:7], s[20:21], v[8:9]
	;; [unrolled: 1-line block ×4, first 2 shown]
	buffer_load_dword v12, off, s[28:31], 0 offset:116 ; 4-byte Folded Reload
	s_waitcnt vmcnt(0)
	ds_write_b128 v12, v[0:3]
	ds_write_b128 v12, v[4:7] offset:80
	ds_write_b128 v12, v[8:11] offset:160
	s_waitcnt lgkmcnt(0)
	s_barrier
	buffer_gl0_inv
	ds_read_b128 v[0:3], v24 offset:720
	ds_read_b128 v[4:7], v24 offset:576
	s_waitcnt lgkmcnt(1)
	v_mul_f64 v[8:9], v[66:67], v[2:3]
	v_fma_f64 v[16:17], v[64:65], v[0:1], v[8:9]
	v_mul_f64 v[0:1], v[66:67], v[0:1]
	v_fma_f64 v[18:19], v[64:65], v[2:3], -v[0:1]
	ds_read_b128 v[0:3], v24 offset:1440
	ds_read_b128 v[8:11], v24 offset:1584
	s_waitcnt lgkmcnt(1)
	v_mul_f64 v[12:13], v[62:63], v[2:3]
	v_fma_f64 v[20:21], v[60:61], v[0:1], v[12:13]
	v_mul_f64 v[0:1], v[62:63], v[0:1]
	v_fma_f64 v[22:23], v[60:61], v[2:3], -v[0:1]
	;; [unrolled: 7-line block ×3, first 2 shown]
	v_mul_f64 v[0:1], v[114:115], v[10:11]
	v_fma_f64 v[29:30], v[112:113], v[8:9], v[0:1]
	v_mul_f64 v[0:1], v[114:115], v[8:9]
	v_fma_f64 v[60:61], v[112:113], v[10:11], -v[0:1]
	s_waitcnt lgkmcnt(0)
	v_mul_f64 v[0:1], v[126:127], v[14:15]
	v_fma_f64 v[76:77], v[124:125], v[12:13], v[0:1]
	v_mul_f64 v[0:1], v[126:127], v[12:13]
	v_fma_f64 v[78:79], v[124:125], v[14:15], -v[0:1]
	ds_read_b128 v[0:3], v24 offset:1728
	ds_read_b128 v[8:11], v24 offset:1872
	s_waitcnt lgkmcnt(1)
	v_mul_f64 v[12:13], v[118:119], v[2:3]
	v_fma_f64 v[80:81], v[116:117], v[0:1], v[12:13]
	v_mul_f64 v[0:1], v[118:119], v[0:1]
	v_fma_f64 v[82:83], v[116:117], v[2:3], -v[0:1]
	ds_read_b128 v[0:3], v24 offset:1152
	ds_read_b128 v[12:15], v24 offset:1296
	s_waitcnt lgkmcnt(1)
	v_mul_f64 v[62:63], v[134:135], v[2:3]
	v_fma_f64 v[84:85], v[132:133], v[0:1], v[62:63]
	v_mul_f64 v[0:1], v[134:135], v[0:1]
	v_fma_f64 v[86:87], v[132:133], v[2:3], -v[0:1]
	v_mul_f64 v[0:1], v[130:131], v[10:11]
	v_fma_f64 v[88:89], v[128:129], v[8:9], v[0:1]
	v_mul_f64 v[0:1], v[130:131], v[8:9]
	v_fma_f64 v[90:91], v[128:129], v[10:11], -v[0:1]
	s_waitcnt lgkmcnt(0)
	v_mul_f64 v[0:1], v[146:147], v[14:15]
	v_fma_f64 v[92:93], v[144:145], v[12:13], v[0:1]
	v_mul_f64 v[0:1], v[146:147], v[12:13]
	v_add_f64 v[12:13], v[16:17], v[20:21]
	v_fma_f64 v[94:95], v[144:145], v[14:15], -v[0:1]
	ds_read_b128 v[0:3], v24 offset:2016
	s_waitcnt lgkmcnt(0)
	v_mul_f64 v[8:9], v[138:139], v[2:3]
	v_fma_f64 v[96:97], v[136:137], v[0:1], v[8:9]
	v_mul_f64 v[0:1], v[138:139], v[0:1]
	v_fma_f64 v[98:99], v[136:137], v[2:3], -v[0:1]
	ds_read_b128 v[0:3], v24
	ds_read_b128 v[8:11], v24 offset:144
	ds_read_b128 v[64:67], v24 offset:288
	;; [unrolled: 1-line block ×3, first 2 shown]
	s_waitcnt lgkmcnt(0)
	s_barrier
	buffer_gl0_inv
	v_fma_f64 v[14:15], v[12:13], -0.5, v[0:1]
	v_add_f64 v[12:13], v[18:19], v[22:23]
	v_add_f64 v[0:1], v[0:1], v[16:17]
	v_fma_f64 v[62:63], v[12:13], -0.5, v[2:3]
	v_add_f64 v[2:3], v[2:3], v[18:19]
	v_add_f64 v[18:19], v[18:19], -v[22:23]
	v_add_f64 v[0:1], v[0:1], v[20:21]
	v_add_f64 v[20:21], v[16:17], -v[20:21]
	v_add_f64 v[2:3], v[2:3], v[22:23]
	v_fma_f64 v[12:13], v[18:19], s[22:23], v[14:15]
	v_fma_f64 v[16:17], v[18:19], s[20:21], v[14:15]
	;; [unrolled: 1-line block ×4, first 2 shown]
	v_add_f64 v[20:21], v[25:26], v[29:30]
	v_fma_f64 v[22:23], v[20:21], -0.5, v[8:9]
	v_add_f64 v[20:21], v[27:28], v[60:61]
	v_add_f64 v[8:9], v[8:9], v[25:26]
	v_add_f64 v[25:26], v[25:26], -v[29:30]
	v_fma_f64 v[62:63], v[20:21], -0.5, v[10:11]
	v_add_f64 v[10:11], v[10:11], v[27:28]
	v_add_f64 v[27:28], v[27:28], -v[60:61]
	v_add_f64 v[8:9], v[8:9], v[29:30]
	v_add_f64 v[29:30], v[84:85], -v[88:89]
	v_add_f64 v[10:11], v[10:11], v[60:61]
	v_fma_f64 v[20:21], v[27:28], s[22:23], v[22:23]
	v_fma_f64 v[60:61], v[27:28], s[20:21], v[22:23]
	;; [unrolled: 1-line block ×4, first 2 shown]
	ds_write_b128 v24, v[0:3]
	ds_write_b128 v24, v[12:15] offset:240
	ds_write_b128 v24, v[16:19] offset:480
	ds_write_b128 v221, v[8:11]
	ds_write_b128 v221, v[20:23] offset:240
	ds_write_b128 v221, v[60:63] offset:480
	v_add_f64 v[0:1], v[76:77], v[80:81]
	v_add_f64 v[8:9], v[64:65], v[76:77]
	v_add_f64 v[12:13], v[78:79], -v[82:83]
	v_add_f64 v[16:17], v[76:77], -v[80:81]
	v_add_f64 v[20:21], v[72:73], v[84:85]
	v_add_f64 v[27:28], v[86:87], -v[90:91]
	v_fma_f64 v[10:11], v[0:1], -0.5, v[64:65]
	v_add_f64 v[0:1], v[78:79], v[82:83]
	v_fma_f64 v[14:15], v[0:1], -0.5, v[66:67]
	v_add_f64 v[0:1], v[66:67], v[78:79]
	v_add_f64 v[2:3], v[0:1], v[82:83]
	;; [unrolled: 1-line block ×3, first 2 shown]
	v_fma_f64 v[8:9], v[12:13], s[22:23], v[10:11]
	v_fma_f64 v[12:13], v[12:13], s[20:21], v[10:11]
	;; [unrolled: 1-line block ×4, first 2 shown]
	v_add_f64 v[16:17], v[84:85], v[88:89]
	v_fma_f64 v[22:23], v[16:17], -0.5, v[72:73]
	v_add_f64 v[16:17], v[86:87], v[90:91]
	v_fma_f64 v[60:61], v[27:28], s[20:21], v[22:23]
	v_fma_f64 v[25:26], v[16:17], -0.5, v[74:75]
	v_add_f64 v[16:17], v[74:75], v[86:87]
	v_fma_f64 v[62:63], v[29:30], s[22:23], v[25:26]
	v_add_f64 v[18:19], v[16:17], v[90:91]
	v_add_f64 v[16:17], v[20:21], v[88:89]
	v_fma_f64 v[20:21], v[27:28], s[22:23], v[22:23]
	v_fma_f64 v[22:23], v[29:30], s[20:21], v[25:26]
	ds_write_b128 v24, v[0:3] offset:768
	ds_write_b128 v24, v[8:11] offset:1008
	;; [unrolled: 1-line block ×3, first 2 shown]
	ds_write_b128 v242, v[16:19]
	ds_write_b128 v242, v[20:23] offset:240
	ds_write_b128 v242, v[60:63] offset:480
	v_add_f64 v[0:1], v[92:93], v[96:97]
	v_add_f64 v[12:13], v[92:93], -v[96:97]
	v_fma_f64 v[8:9], v[0:1], -0.5, v[4:5]
	v_add_f64 v[0:1], v[94:95], v[98:99]
	v_add_f64 v[4:5], v[4:5], v[92:93]
	v_fma_f64 v[10:11], v[0:1], -0.5, v[6:7]
	v_add_f64 v[0:1], v[6:7], v[94:95]
	v_add_f64 v[6:7], v[94:95], -v[98:99]
	v_add_f64 v[2:3], v[0:1], v[98:99]
	v_add_f64 v[0:1], v[4:5], v[96:97]
	v_fma_f64 v[4:5], v[6:7], s[22:23], v[8:9]
	v_fma_f64 v[8:9], v[6:7], s[20:21], v[8:9]
	;; [unrolled: 1-line block ×4, first 2 shown]
	ds_write_b128 v255, v[0:3] offset:1440
	ds_write_b128 v255, v[4:7] offset:1680
	;; [unrolled: 1-line block ×3, first 2 shown]
	s_waitcnt lgkmcnt(0)
	s_barrier
	buffer_gl0_inv
	ds_read_b128 v[0:3], v24 offset:720
	ds_read_b128 v[4:7], v24 offset:576
	s_waitcnt lgkmcnt(1)
	v_mul_f64 v[8:9], v[70:71], v[2:3]
	v_fma_f64 v[16:17], v[68:69], v[0:1], v[8:9]
	v_mul_f64 v[0:1], v[70:71], v[0:1]
	v_fma_f64 v[18:19], v[68:69], v[2:3], -v[0:1]
	ds_read_b128 v[0:3], v24 offset:1440
	ds_read_b128 v[8:11], v24 offset:1584
	s_waitcnt lgkmcnt(1)
	v_mul_f64 v[12:13], v[142:143], v[2:3]
	v_fma_f64 v[20:21], v[140:141], v[0:1], v[12:13]
	v_mul_f64 v[0:1], v[142:143], v[0:1]
	v_fma_f64 v[22:23], v[140:141], v[2:3], -v[0:1]
	;; [unrolled: 7-line block ×3, first 2 shown]
	v_mul_f64 v[0:1], v[150:151], v[10:11]
	v_fma_f64 v[29:30], v[148:149], v[8:9], v[0:1]
	v_mul_f64 v[0:1], v[150:151], v[8:9]
	v_fma_f64 v[60:61], v[148:149], v[10:11], -v[0:1]
	s_waitcnt lgkmcnt(0)
	v_mul_f64 v[0:1], v[166:167], v[14:15]
	v_fma_f64 v[72:73], v[164:165], v[12:13], v[0:1]
	v_mul_f64 v[0:1], v[166:167], v[12:13]
	v_fma_f64 v[74:75], v[164:165], v[14:15], -v[0:1]
	ds_read_b128 v[0:3], v24 offset:1728
	ds_read_b128 v[8:11], v24 offset:1872
	s_waitcnt lgkmcnt(1)
	v_mul_f64 v[12:13], v[158:159], v[2:3]
	v_fma_f64 v[76:77], v[156:157], v[0:1], v[12:13]
	v_mul_f64 v[0:1], v[158:159], v[0:1]
	v_fma_f64 v[78:79], v[156:157], v[2:3], -v[0:1]
	ds_read_b128 v[0:3], v24 offset:1152
	ds_read_b128 v[12:15], v24 offset:1296
	s_waitcnt lgkmcnt(1)
	v_mul_f64 v[62:63], v[170:171], v[2:3]
	v_fma_f64 v[80:81], v[168:169], v[0:1], v[62:63]
	v_mul_f64 v[0:1], v[170:171], v[0:1]
	v_fma_f64 v[82:83], v[168:169], v[2:3], -v[0:1]
	v_mul_f64 v[0:1], v[162:163], v[10:11]
	v_fma_f64 v[84:85], v[160:161], v[8:9], v[0:1]
	v_mul_f64 v[0:1], v[162:163], v[8:9]
	v_fma_f64 v[86:87], v[160:161], v[10:11], -v[0:1]
	s_waitcnt lgkmcnt(0)
	v_mul_f64 v[0:1], v[178:179], v[14:15]
	v_fma_f64 v[88:89], v[176:177], v[12:13], v[0:1]
	v_mul_f64 v[0:1], v[178:179], v[12:13]
	v_add_f64 v[12:13], v[16:17], v[20:21]
	v_fma_f64 v[90:91], v[176:177], v[14:15], -v[0:1]
	ds_read_b128 v[0:3], v24 offset:2016
	s_waitcnt lgkmcnt(0)
	v_mul_f64 v[8:9], v[174:175], v[2:3]
	v_fma_f64 v[92:93], v[172:173], v[0:1], v[8:9]
	v_mul_f64 v[0:1], v[174:175], v[0:1]
	v_fma_f64 v[94:95], v[172:173], v[2:3], -v[0:1]
	ds_read_b128 v[0:3], v24
	ds_read_b128 v[8:11], v24 offset:144
	ds_read_b128 v[64:67], v24 offset:288
	;; [unrolled: 1-line block ×3, first 2 shown]
	s_waitcnt lgkmcnt(3)
	v_fma_f64 v[14:15], v[12:13], -0.5, v[0:1]
	v_add_f64 v[12:13], v[18:19], v[22:23]
	v_add_f64 v[0:1], v[0:1], v[16:17]
	v_fma_f64 v[62:63], v[12:13], -0.5, v[2:3]
	v_add_f64 v[2:3], v[2:3], v[18:19]
	v_add_f64 v[18:19], v[18:19], -v[22:23]
	v_add_f64 v[0:1], v[0:1], v[20:21]
	v_add_f64 v[20:21], v[16:17], -v[20:21]
	v_add_f64 v[2:3], v[2:3], v[22:23]
	v_fma_f64 v[12:13], v[18:19], s[22:23], v[14:15]
	v_fma_f64 v[16:17], v[18:19], s[20:21], v[14:15]
	;; [unrolled: 1-line block ×4, first 2 shown]
	v_add_f64 v[20:21], v[25:26], v[29:30]
	s_waitcnt lgkmcnt(2)
	v_fma_f64 v[22:23], v[20:21], -0.5, v[8:9]
	v_add_f64 v[20:21], v[27:28], v[60:61]
	v_add_f64 v[8:9], v[8:9], v[25:26]
	v_add_f64 v[25:26], v[25:26], -v[29:30]
	v_fma_f64 v[62:63], v[20:21], -0.5, v[10:11]
	v_add_f64 v[10:11], v[10:11], v[27:28]
	v_add_f64 v[27:28], v[27:28], -v[60:61]
	v_add_f64 v[8:9], v[8:9], v[29:30]
	s_waitcnt lgkmcnt(1)
	v_add_f64 v[29:30], v[66:67], v[74:75]
	v_add_f64 v[10:11], v[10:11], v[60:61]
	v_fma_f64 v[20:21], v[27:28], s[22:23], v[22:23]
	v_fma_f64 v[60:61], v[27:28], s[20:21], v[22:23]
	;; [unrolled: 1-line block ×4, first 2 shown]
	v_add_f64 v[25:26], v[72:73], v[76:77]
	v_add_f64 v[27:28], v[74:75], v[78:79]
	v_add_f64 v[74:75], v[74:75], -v[78:79]
	v_fma_f64 v[25:26], v[25:26], -0.5, v[64:65]
	v_fma_f64 v[27:28], v[27:28], -0.5, v[66:67]
	v_add_f64 v[64:65], v[64:65], v[72:73]
	v_add_f64 v[66:67], v[29:30], v[78:79]
	v_add_f64 v[29:30], v[72:73], -v[76:77]
	v_fma_f64 v[72:73], v[74:75], s[22:23], v[25:26]
	v_add_f64 v[64:65], v[64:65], v[76:77]
	v_fma_f64 v[76:77], v[74:75], s[20:21], v[25:26]
	v_fma_f64 v[74:75], v[29:30], s[20:21], v[27:28]
	;; [unrolled: 1-line block ×3, first 2 shown]
	v_add_f64 v[25:26], v[80:81], v[84:85]
	v_add_f64 v[27:28], v[82:83], v[86:87]
	s_waitcnt lgkmcnt(0)
	v_add_f64 v[29:30], v[70:71], v[82:83]
	v_add_f64 v[82:83], v[82:83], -v[86:87]
	v_fma_f64 v[25:26], v[25:26], -0.5, v[68:69]
	v_fma_f64 v[27:28], v[27:28], -0.5, v[70:71]
	v_add_f64 v[68:69], v[68:69], v[80:81]
	v_add_f64 v[70:71], v[29:30], v[86:87]
	v_add_f64 v[29:30], v[80:81], -v[84:85]
	v_fma_f64 v[80:81], v[82:83], s[22:23], v[25:26]
	v_add_f64 v[68:69], v[68:69], v[84:85]
	v_fma_f64 v[84:85], v[82:83], s[20:21], v[25:26]
	v_fma_f64 v[82:83], v[29:30], s[20:21], v[27:28]
	;; [unrolled: 1-line block ×3, first 2 shown]
	v_add_f64 v[27:28], v[90:91], v[94:95]
	v_add_f64 v[25:26], v[88:89], v[92:93]
	v_add_f64 v[29:30], v[90:91], -v[94:95]
	v_fma_f64 v[27:28], v[27:28], -0.5, v[6:7]
	v_add_f64 v[6:7], v[6:7], v[90:91]
	v_fma_f64 v[25:26], v[25:26], -0.5, v[4:5]
	v_add_f64 v[4:5], v[4:5], v[88:89]
	v_add_f64 v[6:7], v[6:7], v[94:95]
	v_add_f64 v[94:95], v[88:89], -v[92:93]
	v_add_f64 v[4:5], v[4:5], v[92:93]
	v_fma_f64 v[88:89], v[29:30], s[22:23], v[25:26]
	v_fma_f64 v[92:93], v[29:30], s[20:21], v[25:26]
	;; [unrolled: 1-line block ×4, first 2 shown]
	ds_write_b128 v24, v[0:3]
	ds_write_b128 v24, v[8:11] offset:144
	ds_write_b128 v24, v[64:67] offset:288
	;; [unrolled: 1-line block ×14, first 2 shown]
	s_waitcnt lgkmcnt(0)
	s_barrier
	buffer_gl0_inv
	ds_read_b128 v[0:3], v24
	ds_read_b128 v[4:7], v24 offset:144
	s_clause 0x3
	buffer_load_dword v12, off, s[28:31], 0 offset:96
	buffer_load_dword v13, off, s[28:31], 0 offset:100
	;; [unrolled: 1-line block ×4, first 2 shown]
	s_waitcnt vmcnt(0) lgkmcnt(1)
	v_mul_f64 v[8:9], v[14:15], v[2:3]
	v_mul_f64 v[10:11], v[14:15], v[0:1]
	v_fma_f64 v[25:26], v[12:13], v[0:1], v[8:9]
	v_fma_f64 v[27:28], v[12:13], v[2:3], -v[10:11]
	ds_read_b128 v[0:3], v24 offset:432
	ds_read_b128 v[8:11], v24 offset:288
	s_clause 0x3
	buffer_load_dword v14, off, s[28:31], 0 offset:80
	buffer_load_dword v15, off, s[28:31], 0 offset:84
	;; [unrolled: 1-line block ×4, first 2 shown]
	s_waitcnt vmcnt(0) lgkmcnt(1)
	v_mul_f64 v[12:13], v[16:17], v[2:3]
	v_fma_f64 v[29:30], v[14:15], v[0:1], v[12:13]
	v_mul_f64 v[0:1], v[16:17], v[0:1]
	v_fma_f64 v[60:61], v[14:15], v[2:3], -v[0:1]
	ds_read_b128 v[0:3], v24 offset:864
	ds_read_b128 v[12:15], v24 offset:1008
	s_clause 0x3
	buffer_load_dword v18, off, s[28:31], 0 offset:64
	buffer_load_dword v19, off, s[28:31], 0 offset:68
	;; [unrolled: 1-line block ×4, first 2 shown]
	s_waitcnt vmcnt(0) lgkmcnt(1)
	v_mul_f64 v[16:17], v[20:21], v[2:3]
	v_fma_f64 v[62:63], v[18:19], v[0:1], v[16:17]
	v_mul_f64 v[0:1], v[20:21], v[0:1]
	v_fma_f64 v[64:65], v[18:19], v[2:3], -v[0:1]
	ds_read_b128 v[0:3], v24 offset:1296
	ds_read_b128 v[16:19], v24 offset:1152
	s_clause 0x3
	buffer_load_dword v68, off, s[28:31], 0
	buffer_load_dword v69, off, s[28:31], 0 offset:4
	buffer_load_dword v70, off, s[28:31], 0 offset:8
	;; [unrolled: 1-line block ×3, first 2 shown]
	s_waitcnt vmcnt(0) lgkmcnt(1)
	v_mul_f64 v[20:21], v[70:71], v[2:3]
	v_fma_f64 v[66:67], v[68:69], v[0:1], v[20:21]
	v_mul_f64 v[0:1], v[70:71], v[0:1]
	v_fma_f64 v[68:69], v[68:69], v[2:3], -v[0:1]
	ds_read_b128 v[0:3], v24 offset:1728
	ds_read_b128 v[20:23], v24 offset:1872
	s_clause 0x7
	buffer_load_dword v72, off, s[28:31], 0 offset:16
	buffer_load_dword v73, off, s[28:31], 0 offset:20
	;; [unrolled: 1-line block ×8, first 2 shown]
	s_waitcnt vmcnt(4) lgkmcnt(1)
	v_mul_f64 v[70:71], v[74:75], v[2:3]
	v_fma_f64 v[70:71], v[72:73], v[0:1], v[70:71]
	v_mul_f64 v[0:1], v[74:75], v[0:1]
	v_fma_f64 v[72:73], v[72:73], v[2:3], -v[0:1]
	s_waitcnt vmcnt(0)
	v_mul_f64 v[0:1], v[78:79], v[6:7]
	v_fma_f64 v[74:75], v[76:77], v[4:5], v[0:1]
	v_mul_f64 v[0:1], v[78:79], v[4:5]
	v_fma_f64 v[76:77], v[76:77], v[6:7], -v[0:1]
	ds_read_b128 v[0:3], v24 offset:576
	ds_read_b128 v[4:7], v24 offset:720
	s_waitcnt lgkmcnt(1)
	v_mul_f64 v[78:79], v[54:55], v[2:3]
	v_fma_f64 v[78:79], v[52:53], v[0:1], v[78:79]
	v_mul_f64 v[0:1], v[54:55], v[0:1]
	v_fma_f64 v[52:53], v[52:53], v[2:3], -v[0:1]
	v_mul_f64 v[0:1], v[42:43], v[14:15]
	v_fma_f64 v[54:55], v[40:41], v[12:13], v[0:1]
	v_mul_f64 v[0:1], v[42:43], v[12:13]
	v_fma_f64 v[40:41], v[40:41], v[14:15], -v[0:1]
	ds_read_b128 v[0:3], v24 offset:1440
	ds_read_b128 v[12:15], v24 offset:1584
	s_waitcnt lgkmcnt(1)
	v_mul_f64 v[42:43], v[58:59], v[2:3]
	v_fma_f64 v[42:43], v[56:57], v[0:1], v[42:43]
	v_mul_f64 v[0:1], v[58:59], v[0:1]
	v_fma_f64 v[56:57], v[56:57], v[2:3], -v[0:1]
	v_mul_f64 v[0:1], v[46:47], v[22:23]
	v_mul_f64 v[2:3], v[34:35], v[16:17]
	v_fma_f64 v[58:59], v[44:45], v[20:21], v[0:1]
	v_mul_f64 v[0:1], v[46:47], v[20:21]
	v_fma_f64 v[84:85], v[32:33], v[18:19], -v[2:3]
	buffer_load_dword v3, off, s[28:31], 0 offset:112 ; 4-byte Folded Reload
	v_fma_f64 v[44:45], v[44:45], v[22:23], -v[0:1]
	v_mul_f64 v[0:1], v[239:240], v[10:11]
	v_fma_f64 v[46:47], v[237:238], v[8:9], v[0:1]
	v_mul_f64 v[0:1], v[239:240], v[8:9]
	v_fma_f64 v[80:81], v[237:238], v[10:11], -v[0:1]
	v_mul_f64 v[0:1], v[50:51], v[6:7]
	v_fma_f64 v[82:83], v[48:49], v[4:5], v[0:1]
	v_mul_f64 v[0:1], v[50:51], v[4:5]
	v_fma_f64 v[48:49], v[48:49], v[6:7], -v[0:1]
	v_mul_f64 v[0:1], v[34:35], v[18:19]
	v_fma_f64 v[50:51], v[32:33], v[16:17], v[0:1]
	s_clause 0x3
	buffer_load_dword v16, off, s[28:31], 0 offset:48
	buffer_load_dword v17, off, s[28:31], 0 offset:52
	;; [unrolled: 1-line block ×4, first 2 shown]
	v_mad_u64_u32 v[0:1], null, s2, v208, 0
	s_mul_i32 s2, s1, 0x1b0
	v_mad_u64_u32 v[1:2], null, s3, v208, v[1:2]
	s_mul_hi_u32 s3, s0, 0x1b0
	v_lshlrev_b64 v[0:1], 4, v[0:1]
	v_add_co_u32 v10, vcc_lo, s4, v0
	v_add_co_ci_u32_e32 v11, vcc_lo, s5, v1, vcc_lo
	s_mul_i32 s4, s0, 0x1b0
	s_add_i32 s5, s3, s2
	s_mov_b32 s2, 0xc901e574
	s_mov_b32 s3, 0x3f7e573a
	v_mul_f64 v[20:21], v[54:55], s[2:3]
	v_mul_f64 v[22:23], v[40:41], s[2:3]
	;; [unrolled: 1-line block ×5, first 2 shown]
	s_waitcnt vmcnt(4)
	v_mad_u64_u32 v[4:5], null, s0, v3, 0
	v_mov_b32_e32 v2, v5
	v_mad_u64_u32 v[2:3], null, s1, v3, v[2:3]
	s_mulk_i32 s1, 0xf9d0
	s_sub_i32 s1, s1, s0
	v_mov_b32_e32 v5, v2
	ds_read_b128 v[0:3], v24 offset:2016
	v_lshlrev_b64 v[4:5], 4, v[4:5]
	v_add_co_u32 v10, vcc_lo, v10, v4
	v_add_co_ci_u32_e32 v11, vcc_lo, v11, v5, vcc_lo
	v_mul_f64 v[4:5], v[29:30], s[2:3]
	v_mul_f64 v[30:31], v[44:45], s[2:3]
	s_waitcnt vmcnt(0) lgkmcnt(1)
	v_mul_f64 v[6:7], v[18:19], v[14:15]
	v_mul_f64 v[8:9], v[18:19], v[12:13]
	;; [unrolled: 1-line block ×3, first 2 shown]
	v_fma_f64 v[86:87], v[16:17], v[12:13], v[6:7]
	v_add_co_u32 v12, vcc_lo, v10, s4
	v_add_co_ci_u32_e32 v13, vcc_lo, s5, v11, vcc_lo
	v_fma_f64 v[88:89], v[16:17], v[14:15], -v[8:9]
	v_add_co_u32 v90, vcc_lo, v12, s4
	v_add_co_ci_u32_e32 v91, vcc_lo, s5, v13, vcc_lo
	s_waitcnt lgkmcnt(0)
	v_mul_f64 v[6:7], v[38:39], v[2:3]
	v_add_co_u32 v92, vcc_lo, v90, s4
	v_add_co_ci_u32_e32 v93, vcc_lo, s5, v91, vcc_lo
	v_mul_f64 v[8:9], v[38:39], v[0:1]
	v_add_co_u32 v98, vcc_lo, v92, s4
	v_add_co_ci_u32_e32 v99, vcc_lo, s5, v93, vcc_lo
	v_mul_f64 v[14:15], v[76:77], s[2:3]
	v_mul_f64 v[16:17], v[78:79], s[2:3]
	;; [unrolled: 1-line block ×3, first 2 shown]
	v_mad_u64_u32 v[100:101], null, 0xfffff9d0, s0, v[98:99]
	v_mul_f64 v[44:45], v[86:87], s[2:3]
	v_mul_f64 v[46:47], v[88:89], s[2:3]
	v_add_nc_u32_e32 v101, s1, v101
	v_add_co_u32 v102, vcc_lo, v100, s4
	v_fma_f64 v[94:95], v[36:37], v[0:1], v[6:7]
	v_mul_f64 v[0:1], v[25:26], s[2:3]
	v_add_co_ci_u32_e32 v103, vcc_lo, s5, v101, vcc_lo
	v_fma_f64 v[96:97], v[36:37], v[2:3], -v[8:9]
	v_mul_f64 v[2:3], v[27:28], s[2:3]
	v_mul_f64 v[6:7], v[60:61], s[2:3]
	v_add_co_u32 v60, vcc_lo, v102, s4
	v_add_co_ci_u32_e32 v61, vcc_lo, s5, v103, vcc_lo
	v_mul_f64 v[8:9], v[70:71], s[2:3]
	v_add_co_u32 v104, vcc_lo, v60, s4
	v_add_co_ci_u32_e32 v105, vcc_lo, s5, v61, vcc_lo
	;; [unrolled: 3-line block ×3, first 2 shown]
	v_mul_f64 v[26:27], v[56:57], s[2:3]
	v_mul_f64 v[28:29], v[58:59], s[2:3]
	;; [unrolled: 1-line block ×3, first 2 shown]
	v_mad_u64_u32 v[108:109], null, 0xfffff9d0, s0, v[106:107]
	v_mul_f64 v[42:43], v[84:85], s[2:3]
	global_store_dwordx4 v[10:11], v[0:3], off
	v_mul_f64 v[0:1], v[62:63], s[2:3]
	v_mul_f64 v[2:3], v[64:65], s[2:3]
	global_store_dwordx4 v[12:13], v[4:7], off
	v_mul_f64 v[4:5], v[66:67], s[2:3]
	v_mul_f64 v[6:7], v[68:69], s[2:3]
	;; [unrolled: 1-line block ×3, first 2 shown]
	v_add_nc_u32_e32 v109, s1, v109
	v_mul_f64 v[12:13], v[74:75], s[2:3]
	v_add_co_u32 v110, vcc_lo, v108, s4
	v_mul_f64 v[48:49], v[94:95], s[2:3]
	v_add_co_ci_u32_e32 v111, vcc_lo, s5, v109, vcc_lo
	v_add_co_u32 v52, vcc_lo, v110, s4
	v_mul_f64 v[50:51], v[96:97], s[2:3]
	v_add_co_ci_u32_e32 v53, vcc_lo, s5, v111, vcc_lo
	v_add_co_u32 v54, vcc_lo, v52, s4
	v_add_co_ci_u32_e32 v55, vcc_lo, s5, v53, vcc_lo
	global_store_dwordx4 v[90:91], v[0:3], off
	v_add_co_u32 v0, vcc_lo, v54, s4
	v_add_co_ci_u32_e32 v1, vcc_lo, s5, v55, vcc_lo
	global_store_dwordx4 v[92:93], v[4:7], off
	global_store_dwordx4 v[98:99], v[8:11], off
	global_store_dwordx4 v[100:101], v[12:15], off
	global_store_dwordx4 v[102:103], v[16:19], off
	global_store_dwordx4 v[60:61], v[20:23], off
	global_store_dwordx4 v[104:105], v[24:27], off
	global_store_dwordx4 v[106:107], v[28:31], off
	global_store_dwordx4 v[108:109], v[32:35], off
	global_store_dwordx4 v[110:111], v[36:39], off
	global_store_dwordx4 v[52:53], v[40:43], off
	global_store_dwordx4 v[54:55], v[44:47], off
	global_store_dwordx4 v[0:1], v[48:51], off
.LBB0_2:
	s_endpgm
	.section	.rodata,"a",@progbits
	.p2align	6, 0x0
	.amdhsa_kernel bluestein_single_back_len135_dim1_dp_op_CI_CI
		.amdhsa_group_segment_fixed_size 30240
		.amdhsa_private_segment_fixed_size 276
		.amdhsa_kernarg_size 104
		.amdhsa_user_sgpr_count 6
		.amdhsa_user_sgpr_private_segment_buffer 1
		.amdhsa_user_sgpr_dispatch_ptr 0
		.amdhsa_user_sgpr_queue_ptr 0
		.amdhsa_user_sgpr_kernarg_segment_ptr 1
		.amdhsa_user_sgpr_dispatch_id 0
		.amdhsa_user_sgpr_flat_scratch_init 0
		.amdhsa_user_sgpr_private_segment_size 0
		.amdhsa_wavefront_size32 1
		.amdhsa_uses_dynamic_stack 0
		.amdhsa_system_sgpr_private_segment_wavefront_offset 1
		.amdhsa_system_sgpr_workgroup_id_x 1
		.amdhsa_system_sgpr_workgroup_id_y 0
		.amdhsa_system_sgpr_workgroup_id_z 0
		.amdhsa_system_sgpr_workgroup_info 0
		.amdhsa_system_vgpr_workitem_id 0
		.amdhsa_next_free_vgpr 256
		.amdhsa_next_free_sgpr 32
		.amdhsa_reserve_vcc 1
		.amdhsa_reserve_flat_scratch 0
		.amdhsa_float_round_mode_32 0
		.amdhsa_float_round_mode_16_64 0
		.amdhsa_float_denorm_mode_32 3
		.amdhsa_float_denorm_mode_16_64 3
		.amdhsa_dx10_clamp 1
		.amdhsa_ieee_mode 1
		.amdhsa_fp16_overflow 0
		.amdhsa_workgroup_processor_mode 1
		.amdhsa_memory_ordered 1
		.amdhsa_forward_progress 0
		.amdhsa_shared_vgpr_count 0
		.amdhsa_exception_fp_ieee_invalid_op 0
		.amdhsa_exception_fp_denorm_src 0
		.amdhsa_exception_fp_ieee_div_zero 0
		.amdhsa_exception_fp_ieee_overflow 0
		.amdhsa_exception_fp_ieee_underflow 0
		.amdhsa_exception_fp_ieee_inexact 0
		.amdhsa_exception_int_div_zero 0
	.end_amdhsa_kernel
	.text
.Lfunc_end0:
	.size	bluestein_single_back_len135_dim1_dp_op_CI_CI, .Lfunc_end0-bluestein_single_back_len135_dim1_dp_op_CI_CI
                                        ; -- End function
	.section	.AMDGPU.csdata,"",@progbits
; Kernel info:
; codeLenInByte = 16604
; NumSgprs: 34
; NumVgprs: 256
; ScratchSize: 276
; MemoryBound: 0
; FloatMode: 240
; IeeeMode: 1
; LDSByteSize: 30240 bytes/workgroup (compile time only)
; SGPRBlocks: 4
; VGPRBlocks: 31
; NumSGPRsForWavesPerEU: 34
; NumVGPRsForWavesPerEU: 256
; Occupancy: 4
; WaveLimiterHint : 1
; COMPUTE_PGM_RSRC2:SCRATCH_EN: 1
; COMPUTE_PGM_RSRC2:USER_SGPR: 6
; COMPUTE_PGM_RSRC2:TRAP_HANDLER: 0
; COMPUTE_PGM_RSRC2:TGID_X_EN: 1
; COMPUTE_PGM_RSRC2:TGID_Y_EN: 0
; COMPUTE_PGM_RSRC2:TGID_Z_EN: 0
; COMPUTE_PGM_RSRC2:TIDIG_COMP_CNT: 0
	.text
	.p2alignl 6, 3214868480
	.fill 48, 4, 3214868480
	.type	__hip_cuid_4a53ba5cea5512e3,@object ; @__hip_cuid_4a53ba5cea5512e3
	.section	.bss,"aw",@nobits
	.globl	__hip_cuid_4a53ba5cea5512e3
__hip_cuid_4a53ba5cea5512e3:
	.byte	0                               ; 0x0
	.size	__hip_cuid_4a53ba5cea5512e3, 1

	.ident	"AMD clang version 19.0.0git (https://github.com/RadeonOpenCompute/llvm-project roc-6.4.0 25133 c7fe45cf4b819c5991fe208aaa96edf142730f1d)"
	.section	".note.GNU-stack","",@progbits
	.addrsig
	.addrsig_sym __hip_cuid_4a53ba5cea5512e3
	.amdgpu_metadata
---
amdhsa.kernels:
  - .args:
      - .actual_access:  read_only
        .address_space:  global
        .offset:         0
        .size:           8
        .value_kind:     global_buffer
      - .actual_access:  read_only
        .address_space:  global
        .offset:         8
        .size:           8
        .value_kind:     global_buffer
      - .actual_access:  read_only
        .address_space:  global
        .offset:         16
        .size:           8
        .value_kind:     global_buffer
      - .actual_access:  read_only
        .address_space:  global
        .offset:         24
        .size:           8
        .value_kind:     global_buffer
      - .actual_access:  read_only
        .address_space:  global
        .offset:         32
        .size:           8
        .value_kind:     global_buffer
      - .offset:         40
        .size:           8
        .value_kind:     by_value
      - .address_space:  global
        .offset:         48
        .size:           8
        .value_kind:     global_buffer
      - .address_space:  global
        .offset:         56
        .size:           8
        .value_kind:     global_buffer
      - .address_space:  global
        .offset:         64
        .size:           8
        .value_kind:     global_buffer
      - .address_space:  global
        .offset:         72
        .size:           8
        .value_kind:     global_buffer
      - .offset:         80
        .size:           4
        .value_kind:     by_value
      - .address_space:  global
        .offset:         88
        .size:           8
        .value_kind:     global_buffer
      - .address_space:  global
        .offset:         96
        .size:           8
        .value_kind:     global_buffer
    .group_segment_fixed_size: 30240
    .kernarg_segment_align: 8
    .kernarg_segment_size: 104
    .language:       OpenCL C
    .language_version:
      - 2
      - 0
    .max_flat_workgroup_size: 126
    .name:           bluestein_single_back_len135_dim1_dp_op_CI_CI
    .private_segment_fixed_size: 276
    .sgpr_count:     34
    .sgpr_spill_count: 0
    .symbol:         bluestein_single_back_len135_dim1_dp_op_CI_CI.kd
    .uniform_work_group_size: 1
    .uses_dynamic_stack: false
    .vgpr_count:     256
    .vgpr_spill_count: 68
    .wavefront_size: 32
    .workgroup_processor_mode: 1
amdhsa.target:   amdgcn-amd-amdhsa--gfx1030
amdhsa.version:
  - 1
  - 2
...

	.end_amdgpu_metadata
